;; amdgpu-corpus repo=ROCm/rocFFT kind=compiled arch=gfx906 opt=O3
	.text
	.amdgcn_target "amdgcn-amd-amdhsa--gfx906"
	.amdhsa_code_object_version 6
	.protected	bluestein_single_fwd_len1326_dim1_sp_op_CI_CI ; -- Begin function bluestein_single_fwd_len1326_dim1_sp_op_CI_CI
	.globl	bluestein_single_fwd_len1326_dim1_sp_op_CI_CI
	.p2align	8
	.type	bluestein_single_fwd_len1326_dim1_sp_op_CI_CI,@function
bluestein_single_fwd_len1326_dim1_sp_op_CI_CI: ; @bluestein_single_fwd_len1326_dim1_sp_op_CI_CI
; %bb.0:
	s_mov_b64 s[26:27], s[2:3]
	s_mov_b64 s[24:25], s[0:1]
	s_load_dwordx4 s[0:3], s[4:5], 0x28
	v_mul_u32_u24_e32 v1, 0x283, v0
	v_lshrrev_b32_e32 v1, 16, v1
	v_lshl_add_u32 v104, s6, 1, v1
	v_mov_b32_e32 v105, 0
	s_add_u32 s24, s24, s7
	s_waitcnt lgkmcnt(0)
	v_cmp_gt_u64_e32 vcc, s[0:1], v[104:105]
	s_addc_u32 s25, s25, 0
	s_and_saveexec_b64 s[0:1], vcc
	s_cbranch_execz .LBB0_23
; %bb.1:
	s_load_dwordx2 s[12:13], s[4:5], 0x0
	s_load_dwordx2 s[14:15], s[4:5], 0x38
	v_mul_lo_u16_e32 v2, 0x66, v1
	v_sub_u16_e32 v225, v0, v2
	v_and_b32_e32 v0, 1, v1
	v_mov_b32_e32 v1, 0x52e
	v_cmp_eq_u32_e32 vcc, 1, v0
	v_cndmask_b32_e32 v62, 0, v1, vcc
	s_movk_i32 s0, 0x4e
	v_cmp_gt_u16_e64 s[0:1], s0, v225
	v_lshlrev_b32_e32 v103, 3, v225
	v_lshlrev_b32_e32 v226, 3, v62
	s_and_saveexec_b64 s[6:7], s[0:1]
	s_cbranch_execz .LBB0_3
; %bb.2:
	s_load_dwordx2 s[8:9], s[4:5], 0x18
	s_waitcnt lgkmcnt(0)
	v_mov_b32_e32 v18, s13
	s_load_dwordx4 s[8:11], s[8:9], 0x0
	s_waitcnt lgkmcnt(0)
	v_mad_u64_u32 v[0:1], s[16:17], s10, v104, 0
	v_mad_u64_u32 v[2:3], s[16:17], s8, v225, 0
	;; [unrolled: 1-line block ×4, first 2 shown]
	v_mov_b32_e32 v1, v4
	v_lshlrev_b64 v[0:1], 3, v[0:1]
	v_mov_b32_e32 v3, v5
	v_mov_b32_e32 v6, s3
	v_lshlrev_b64 v[2:3], 3, v[2:3]
	v_add_co_u32_e32 v0, vcc, s2, v0
	v_addc_co_u32_e32 v1, vcc, v6, v1, vcc
	v_add_co_u32_e32 v0, vcc, v0, v2
	v_addc_co_u32_e32 v1, vcc, v1, v3, vcc
	v_add_co_u32_e32 v39, vcc, s12, v103
	s_movk_i32 s2, 0x1000
	v_addc_co_u32_e32 v64, vcc, 0, v18, vcc
	v_add_co_u32_e32 v18, vcc, s2, v39
	s_mul_i32 s2, s9, 0x270
	s_mul_hi_u32 s3, s8, 0x270
	v_addc_co_u32_e32 v19, vcc, 0, v64, vcc
	s_mulk_i32 s8, 0x270
	s_add_i32 s2, s3, s2
	global_load_dwordx2 v[2:3], v[0:1], off
	global_load_dwordx2 v[4:5], v103, s[12:13]
	v_mov_b32_e32 v20, s2
	v_add_co_u32_e32 v0, vcc, s8, v0
	v_addc_co_u32_e32 v1, vcc, v1, v20, vcc
	v_mov_b32_e32 v21, s2
	v_add_co_u32_e32 v20, vcc, s8, v0
	v_addc_co_u32_e32 v21, vcc, v1, v21, vcc
	;; [unrolled: 3-line block ×3, first 2 shown]
	global_load_dwordx2 v[6:7], v103, s[12:13] offset:624
	global_load_dwordx2 v[8:9], v103, s[12:13] offset:1248
	;; [unrolled: 1-line block ×6, first 2 shown]
	v_mov_b32_e32 v30, s2
	global_load_dwordx2 v[24:25], v[0:1], off
	global_load_dwordx2 v[26:27], v[20:21], off
	;; [unrolled: 1-line block ×3, first 2 shown]
	v_add_co_u32_e32 v0, vcc, s8, v22
	v_addc_co_u32_e32 v1, vcc, v23, v30, vcc
	v_mov_b32_e32 v31, s2
	global_load_dwordx2 v[20:21], v[0:1], off
	v_add_co_u32_e32 v0, vcc, s8, v0
	v_addc_co_u32_e32 v1, vcc, v1, v31, vcc
	v_mov_b32_e32 v32, s2
	global_load_dwordx2 v[22:23], v[0:1], off
	v_add_co_u32_e32 v0, vcc, s8, v0
	v_addc_co_u32_e32 v1, vcc, v1, v32, vcc
	v_mov_b32_e32 v33, s2
	global_load_dwordx2 v[30:31], v[0:1], off
	v_add_co_u32_e32 v0, vcc, s8, v0
	v_addc_co_u32_e32 v1, vcc, v1, v33, vcc
	v_mov_b32_e32 v34, s2
	global_load_dwordx2 v[32:33], v[0:1], off
	v_add_co_u32_e32 v0, vcc, s8, v0
	v_addc_co_u32_e32 v1, vcc, v1, v34, vcc
	v_mov_b32_e32 v36, s2
	global_load_dwordx2 v[34:35], v[0:1], off
	v_add_co_u32_e32 v0, vcc, s8, v0
	v_addc_co_u32_e32 v1, vcc, v1, v36, vcc
	v_mov_b32_e32 v40, s2
	global_load_dwordx2 v[36:37], v[0:1], off
	v_add_co_u32_e32 v0, vcc, s8, v0
	v_addc_co_u32_e32 v1, vcc, v1, v40, vcc
	global_load_dwordx2 v[40:41], v[0:1], off
	global_load_dwordx2 v[42:43], v[18:19], off offset:272
	global_load_dwordx2 v[44:45], v[18:19], off offset:896
	;; [unrolled: 1-line block ×4, first 2 shown]
	v_mov_b32_e32 v50, s2
	v_add_co_u32_e32 v0, vcc, s8, v0
	v_addc_co_u32_e32 v1, vcc, v1, v50, vcc
	global_load_dwordx2 v[50:51], v[0:1], off
	v_mov_b32_e32 v52, s2
	v_add_co_u32_e32 v0, vcc, s8, v0
	v_addc_co_u32_e32 v1, vcc, v1, v52, vcc
	global_load_dwordx2 v[52:53], v[0:1], off
	;; [unrolled: 4-line block ×3, first 2 shown]
	global_load_dwordx2 v[56:57], v[18:19], off offset:2768
	global_load_dwordx2 v[58:59], v[18:19], off offset:3392
	;; [unrolled: 1-line block ×3, first 2 shown]
	v_mov_b32_e32 v18, s2
	v_add_co_u32_e32 v0, vcc, s8, v0
	v_addc_co_u32_e32 v1, vcc, v1, v18, vcc
	s_movk_i32 s3, 0x2000
	v_add_co_u32_e32 v63, vcc, s3, v39
	v_addc_co_u32_e32 v64, vcc, 0, v64, vcc
	global_load_dwordx2 v[18:19], v[0:1], off
	v_mov_b32_e32 v39, s2
	v_add_co_u32_e32 v0, vcc, s8, v0
	v_addc_co_u32_e32 v1, vcc, v1, v39, vcc
	global_load_dwordx2 v[65:66], v[63:64], off offset:544
	global_load_dwordx2 v[67:68], v[0:1], off
	global_load_dwordx2 v[69:70], v[63:64], off offset:1168
	v_add_co_u32_e32 v0, vcc, s8, v0
	v_addc_co_u32_e32 v1, vcc, v1, v39, vcc
	global_load_dwordx2 v[71:72], v[0:1], off
	global_load_dwordx2 v[73:74], v[63:64], off offset:1792
	s_waitcnt vmcnt(32)
	v_mul_f32_e32 v38, v3, v5
	v_mul_f32_e32 v1, v2, v5
	v_fmac_f32_e32 v38, v2, v4
	v_lshl_add_u32 v0, v225, 3, v226
	v_fma_f32 v39, v3, v4, -v1
	ds_write_b64 v0, v[38:39]
	s_waitcnt vmcnt(25)
	v_mul_f32_e32 v0, v25, v7
	v_mul_f32_e32 v1, v24, v7
	s_waitcnt vmcnt(24)
	v_mul_f32_e32 v2, v27, v9
	v_mul_f32_e32 v3, v26, v9
	v_fmac_f32_e32 v0, v24, v6
	v_add_u32_e32 v4, v226, v103
	v_fma_f32 v1, v25, v6, -v1
	v_fmac_f32_e32 v2, v26, v8
	v_fma_f32 v3, v27, v8, -v3
	ds_write2_b64 v4, v[0:1], v[2:3] offset0:78 offset1:156
	s_waitcnt vmcnt(23)
	v_mul_f32_e32 v0, v29, v11
	v_mul_f32_e32 v1, v28, v11
	s_waitcnt vmcnt(22)
	v_mul_f32_e32 v2, v21, v13
	v_mul_f32_e32 v3, v20, v13
	v_fmac_f32_e32 v0, v28, v10
	v_fma_f32 v1, v29, v10, -v1
	v_fmac_f32_e32 v2, v20, v12
	v_fma_f32 v3, v21, v12, -v3
	v_add_u32_e32 v5, 0x400, v4
	ds_write2_b64 v5, v[0:1], v[2:3] offset0:106 offset1:184
	s_waitcnt vmcnt(21)
	v_mul_f32_e32 v0, v23, v15
	v_mul_f32_e32 v1, v22, v15
	s_waitcnt vmcnt(20)
	v_mul_f32_e32 v2, v31, v17
	v_mul_f32_e32 v3, v30, v17
	v_fmac_f32_e32 v0, v22, v14
	v_fma_f32 v1, v23, v14, -v1
	v_fmac_f32_e32 v2, v30, v16
	v_fma_f32 v3, v31, v16, -v3
	v_add_u32_e32 v5, 0x800, v4
	ds_write2_b64 v5, v[0:1], v[2:3] offset0:134 offset1:212
	s_waitcnt vmcnt(15)
	v_mul_f32_e32 v0, v33, v43
	v_mul_f32_e32 v1, v32, v43
	s_waitcnt vmcnt(14)
	v_mul_f32_e32 v2, v35, v45
	v_mul_f32_e32 v3, v34, v45
	v_fmac_f32_e32 v0, v32, v42
	v_fma_f32 v1, v33, v42, -v1
	v_fmac_f32_e32 v2, v34, v44
	v_fma_f32 v3, v35, v44, -v3
	v_add_u32_e32 v5, 0x1000, v4
	ds_write2_b64 v5, v[0:1], v[2:3] offset0:34 offset1:112
	s_waitcnt vmcnt(13)
	v_mul_f32_e32 v0, v37, v47
	v_mul_f32_e32 v1, v36, v47
	s_waitcnt vmcnt(12)
	v_mul_f32_e32 v2, v41, v49
	v_mul_f32_e32 v3, v40, v49
	v_fmac_f32_e32 v0, v36, v46
	v_fma_f32 v1, v37, v46, -v1
	v_fmac_f32_e32 v2, v40, v48
	v_fma_f32 v3, v41, v48, -v3
	v_add_u32_e32 v5, 0x1400, v4
	ds_write2_b64 v5, v[0:1], v[2:3] offset0:62 offset1:140
	s_waitcnt vmcnt(8)
	v_mul_f32_e32 v0, v51, v57
	v_mul_f32_e32 v1, v50, v57
	s_waitcnt vmcnt(7)
	v_mul_f32_e32 v2, v53, v59
	v_mul_f32_e32 v3, v52, v59
	v_fmac_f32_e32 v0, v50, v56
	v_fma_f32 v1, v51, v56, -v1
	v_fmac_f32_e32 v2, v52, v58
	v_fma_f32 v3, v53, v58, -v3
	v_add_u32_e32 v5, 0x1800, v4
	ds_write2_b64 v5, v[0:1], v[2:3] offset0:90 offset1:168
	s_waitcnt vmcnt(6)
	v_mul_f32_e32 v0, v55, v61
	v_mul_f32_e32 v1, v54, v61
	v_fmac_f32_e32 v0, v54, v60
	v_fma_f32 v1, v55, v60, -v1
	v_add_u32_e32 v5, 0x1c00, v4
	v_add_u32_e32 v4, 0x2000, v4
	s_waitcnt vmcnt(4)
	v_mul_f32_e32 v2, v19, v66
	v_mul_f32_e32 v3, v18, v66
	v_fmac_f32_e32 v2, v18, v65
	v_fma_f32 v3, v19, v65, -v3
	ds_write2_b64 v5, v[0:1], v[2:3] offset0:118 offset1:196
	s_waitcnt vmcnt(2)
	v_mul_f32_e32 v0, v68, v70
	v_mul_f32_e32 v1, v67, v70
	s_waitcnt vmcnt(0)
	v_mul_f32_e32 v2, v72, v74
	v_mul_f32_e32 v3, v71, v74
	v_fmac_f32_e32 v0, v67, v69
	v_fma_f32 v1, v68, v69, -v1
	v_fmac_f32_e32 v2, v71, v73
	v_fma_f32 v3, v72, v73, -v3
	ds_write2_b64 v4, v[0:1], v[2:3] offset0:146 offset1:224
.LBB0_3:
	s_or_b64 exec, exec, s[6:7]
	v_mov_b32_e32 v0, 0
	v_mov_b32_e32 v1, 0
	s_waitcnt lgkmcnt(0)
	s_barrier
	s_waitcnt lgkmcnt(0)
                                        ; implicit-def: $vgpr6
                                        ; implicit-def: $vgpr12
                                        ; implicit-def: $vgpr30
                                        ; implicit-def: $vgpr34
                                        ; implicit-def: $vgpr42
                                        ; implicit-def: $vgpr22
                                        ; implicit-def: $vgpr18
                                        ; implicit-def: $vgpr10
	s_and_saveexec_b64 s[2:3], s[0:1]
	s_cbranch_execz .LBB0_5
; %bb.4:
	v_lshl_add_u32 v24, v62, 3, v103
	v_add_u32_e32 v4, 0x800, v24
	ds_read2_b64 v[0:3], v24 offset1:78
	ds_read2_b64 v[8:11], v24 offset0:156 offset1:234
	ds_read2_b64 v[16:19], v4 offset0:56 offset1:134
	v_add_u32_e32 v4, 0xc00, v24
	ds_read2_b64 v[20:23], v4 offset0:84 offset1:162
	v_add_u32_e32 v4, 0x1000, v24
	v_add_u32_e32 v25, 0x1800, v24
	ds_read2_b64 v[4:7], v4 offset0:112 offset1:190
	ds_read2_b64 v[12:15], v25 offset0:12 offset1:90
	;; [unrolled: 1-line block ×3, first 2 shown]
	v_add_u32_e32 v25, 0x2000, v24
	ds_read2_b64 v[34:37], v25 offset0:68 offset1:146
	ds_read_b64 v[42:43], v24 offset:9984
.LBB0_5:
	s_or_b64 exec, exec, s[2:3]
	s_waitcnt lgkmcnt(0)
	v_sub_f32_e32 v72, v3, v43
	v_mul_f32_e32 v52, 0xbeb8f4ab, v72
	v_sub_f32_e32 v76, v9, v37
	v_add_f32_e32 v44, v42, v2
	v_sub_f32_e32 v74, v2, v42
	v_mov_b32_e32 v24, v52
	v_mul_f32_e32 v57, 0xbf2c7751, v76
	v_add_f32_e32 v45, v43, v3
	s_mov_b32 s10, 0x3f6eb680
	v_mul_f32_e32 v54, 0xbeb8f4ab, v74
	v_fmac_f32_e32 v24, 0x3f6eb680, v44
	v_add_f32_e32 v46, v36, v8
	v_sub_f32_e32 v79, v8, v36
	v_mov_b32_e32 v26, v57
	v_add_f32_e32 v24, v24, v0
	v_fma_f32 v25, v45, s10, -v54
	s_mov_b32 s11, 0x3f3d2fb0
	v_add_f32_e32 v47, v37, v9
	v_mul_f32_e32 v58, 0xbf2c7751, v79
	v_fmac_f32_e32 v26, 0x3f3d2fb0, v46
	v_sub_f32_e32 v80, v11, v35
	v_add_f32_e32 v25, v25, v1
	v_add_f32_e32 v24, v26, v24
	v_fma_f32 v26, v47, s11, -v58
	v_mul_f32_e32 v61, 0xbf65296c, v80
	v_add_f32_e32 v25, v26, v25
	v_add_f32_e32 v48, v34, v10
	v_sub_f32_e32 v83, v10, v34
	v_mov_b32_e32 v26, v61
	s_mov_b32 s16, 0x3ee437d1
	v_add_f32_e32 v49, v35, v11
	v_mul_f32_e32 v63, 0xbf65296c, v83
	v_fmac_f32_e32 v26, 0x3ee437d1, v48
	v_sub_f32_e32 v84, v17, v33
	v_add_f32_e32 v24, v26, v24
	v_fma_f32 v26, v49, s16, -v63
	v_mul_f32_e32 v66, 0xbf7ee86f, v84
	v_add_f32_e32 v25, v26, v25
	v_add_f32_e32 v50, v32, v16
	v_sub_f32_e32 v89, v16, v32
	v_mov_b32_e32 v26, v66
	s_mov_b32 s17, 0x3dbcf732
	v_add_f32_e32 v51, v33, v17
	v_mul_f32_e32 v67, 0xbf7ee86f, v89
	v_fmac_f32_e32 v26, 0x3dbcf732, v50
	v_sub_f32_e32 v94, v19, v31
	;; [unrolled: 12-line block ×5, first 2 shown]
	v_add_f32_e32 v24, v26, v24
	v_fma_f32 v26, v64, s21, -v77
	v_mul_f32_e32 v78, 0xbe3c28d5, v119
	v_add_f32_e32 v25, v26, v25
	v_add_f32_e32 v65, v6, v4
	v_mov_b32_e32 v26, v78
	v_sub_f32_e32 v128, v4, v6
	s_mov_b32 s19, 0xbf7ba420
	v_fmac_f32_e32 v26, 0xbf7ba420, v65
	v_add_f32_e32 v68, v7, v5
	v_mul_f32_e32 v81, 0xbe3c28d5, v128
	v_mul_f32_e32 v85, 0xbf2c7751, v72
	v_fma_f32 v27, v68, s19, -v81
	v_add_f32_e32 v28, v26, v24
	v_mov_b32_e32 v24, v85
	v_mul_f32_e32 v86, 0xbf7ee86f, v76
	v_add_f32_e32 v29, v27, v25
	v_fmac_f32_e32 v24, 0x3f3d2fb0, v44
	v_mov_b32_e32 v25, v86
	v_add_f32_e32 v24, v24, v0
	v_fmac_f32_e32 v25, 0x3dbcf732, v46
	v_mul_f32_e32 v91, 0xbf2c7751, v74
	v_add_f32_e32 v24, v25, v24
	v_fma_f32 v25, v45, s11, -v91
	v_mul_f32_e32 v92, 0xbf7ee86f, v79
	v_add_f32_e32 v25, v25, v1
	v_fma_f32 v26, v47, s17, -v92
	v_mul_f32_e32 v87, 0xbf4c4adb, v80
	v_add_f32_e32 v25, v26, v25
	v_mov_b32_e32 v26, v87
	v_fmac_f32_e32 v26, 0xbf1a4643, v48
	v_mul_f32_e32 v95, 0xbf4c4adb, v83
	v_add_f32_e32 v24, v26, v24
	v_fma_f32 v26, v49, s20, -v95
	v_mul_f32_e32 v88, 0xbe3c28d5, v84
	v_add_f32_e32 v25, v26, v25
	v_mov_b32_e32 v26, v88
	v_fmac_f32_e32 v26, 0xbf7ba420, v50
	v_mul_f32_e32 v97, 0xbe3c28d5, v89
	v_add_f32_e32 v24, v26, v24
	v_fma_f32 v26, v51, s19, -v97
	v_mul_f32_e32 v90, 0x3f06c442, v94
	v_add_f32_e32 v25, v26, v25
	v_mov_b32_e32 v26, v90
	v_fmac_f32_e32 v26, 0xbf59a7d5, v53
	v_mul_f32_e32 v99, 0x3f06c442, v102
	v_add_f32_e32 v24, v26, v24
	v_fma_f32 v26, v55, s21, -v99
	v_mul_f32_e32 v93, 0x3f763a35, v107
	v_add_f32_e32 v25, v26, v25
	v_mov_b32_e32 v26, v93
	v_fmac_f32_e32 v26, 0xbe8c1d8e, v56
	v_mul_f32_e32 v100, 0x3f763a35, v108
	v_add_f32_e32 v24, v26, v24
	v_fma_f32 v26, v59, s18, -v100
	v_mul_f32_e32 v96, 0x3f65296c, v114
	v_add_f32_e32 v25, v26, v25
	v_mov_b32_e32 v26, v96
	v_fmac_f32_e32 v26, 0x3ee437d1, v60
	v_mul_f32_e32 v101, 0x3f65296c, v118
	v_add_f32_e32 v24, v26, v24
	v_fma_f32 v26, v64, s16, -v101
	v_mul_f32_e32 v98, 0x3eb8f4ab, v119
	v_add_f32_e32 v25, v26, v25
	v_mov_b32_e32 v26, v98
	v_fmac_f32_e32 v26, 0x3f6eb680, v65
	v_mul_f32_e32 v106, 0x3eb8f4ab, v128
	v_mul_f32_e32 v109, 0xbf65296c, v72
	v_fma_f32 v27, v68, s10, -v106
	v_add_f32_e32 v40, v26, v24
	v_mov_b32_e32 v24, v109
	v_mul_f32_e32 v110, 0xbf4c4adb, v76
	v_add_f32_e32 v41, v27, v25
	v_fmac_f32_e32 v24, 0x3ee437d1, v44
	v_mov_b32_e32 v25, v110
	v_add_f32_e32 v24, v24, v0
	v_fmac_f32_e32 v25, 0xbf1a4643, v46
	v_mul_f32_e32 v111, 0x3e3c28d5, v80
	v_add_f32_e32 v24, v25, v24
	v_mov_b32_e32 v25, v111
	v_fmac_f32_e32 v25, 0xbf7ba420, v48
	v_mul_f32_e32 v112, 0x3f763a35, v84
	v_add_f32_e32 v24, v25, v24
	v_mov_b32_e32 v25, v112
	;; [unrolled: 4-line block ×6, first 2 shown]
	v_fmac_f32_e32 v25, 0xbf59a7d5, v65
	v_mul_f32_e32 v120, 0xbf65296c, v74
	v_add_f32_e32 v38, v25, v24
	v_fma_f32 v24, v45, s16, -v120
	v_mul_f32_e32 v121, 0xbf4c4adb, v79
	v_add_f32_e32 v24, v24, v1
	v_fma_f32 v25, v47, s20, -v121
	v_mul_f32_e32 v122, 0x3e3c28d5, v83
	v_add_f32_e32 v24, v25, v24
	v_fma_f32 v25, v49, s19, -v122
	v_mul_f32_e32 v123, 0x3f763a35, v89
	v_add_f32_e32 v24, v25, v24
	v_fma_f32 v25, v51, s18, -v123
	v_mul_f32_e32 v124, 0x3f2c7751, v102
	v_add_f32_e32 v24, v25, v24
	v_fma_f32 v25, v55, s11, -v124
	v_mul_f32_e32 v125, 0xbeb8f4ab, v108
	v_add_f32_e32 v24, v25, v24
	v_fma_f32 v25, v59, s10, -v125
	v_mul_f32_e32 v126, 0xbf7ee86f, v118
	v_add_f32_e32 v24, v25, v24
	v_fma_f32 v25, v64, s17, -v126
	v_mul_f32_e32 v127, 0xbf06c442, v128
	v_add_f32_e32 v24, v25, v24
	v_fma_f32 v25, v68, s21, -v127
	v_mul_f32_e32 v129, 0xbf7ee86f, v72
	v_add_f32_e32 v39, v25, v24
	v_mov_b32_e32 v24, v129
	v_mul_f32_e32 v130, 0xbe3c28d5, v76
	v_fmac_f32_e32 v24, 0x3dbcf732, v44
	v_mov_b32_e32 v25, v130
	v_add_f32_e32 v24, v24, v0
	v_fmac_f32_e32 v25, 0xbf7ba420, v46
	v_mul_f32_e32 v134, 0xbf7ee86f, v74
	v_add_f32_e32 v24, v25, v24
	v_fma_f32 v25, v45, s17, -v134
	v_mul_f32_e32 v135, 0xbe3c28d5, v79
	v_add_f32_e32 v25, v25, v1
	v_fma_f32 v26, v47, s19, -v135
	v_mul_f32_e32 v131, 0x3f763a35, v80
	v_add_f32_e32 v25, v26, v25
	v_mov_b32_e32 v26, v131
	v_fmac_f32_e32 v26, 0xbe8c1d8e, v48
	v_mul_f32_e32 v137, 0x3f763a35, v83
	v_add_f32_e32 v24, v26, v24
	v_fma_f32 v26, v49, s18, -v137
	v_mul_f32_e32 v132, 0x3eb8f4ab, v84
	v_add_f32_e32 v25, v26, v25
	v_mov_b32_e32 v26, v132
	v_fmac_f32_e32 v26, 0x3f6eb680, v50
	;; [unrolled: 7-line block ×6, first 2 shown]
	v_mul_f32_e32 v144, 0x3f2c7751, v128
	v_mul_f32_e32 v145, 0xbf763a35, v72
	v_fma_f32 v27, v68, s11, -v144
	v_add_f32_e32 v26, v26, v24
	v_mov_b32_e32 v24, v145
	v_mul_f32_e32 v152, 0x3f06c442, v76
	v_add_f32_e32 v27, v27, v25
	v_fmac_f32_e32 v24, 0xbe8c1d8e, v44
	v_mov_b32_e32 v25, v152
	v_add_f32_e32 v24, v24, v0
	v_fmac_f32_e32 v25, 0xbf59a7d5, v46
	v_mul_f32_e32 v146, 0x3f2c7751, v80
	v_add_f32_e32 v24, v25, v24
	v_mov_b32_e32 v25, v146
	v_fmac_f32_e32 v25, 0x3f3d2fb0, v48
	v_mul_f32_e32 v147, 0xbf65296c, v84
	v_add_f32_e32 v24, v25, v24
	v_mov_b32_e32 v25, v147
	;; [unrolled: 4-line block ×6, first 2 shown]
	v_fmac_f32_e32 v25, 0xbf1a4643, v65
	v_mul_f32_e32 v159, 0xbf763a35, v74
	v_add_f32_e32 v24, v25, v24
	v_fma_f32 v25, v45, s18, -v159
	v_mul_f32_e32 v160, 0x3f06c442, v79
	v_add_f32_e32 v25, v25, v1
	v_fma_f32 v153, v47, s21, -v160
	;; [unrolled: 3-line block ×6, first 2 shown]
	v_mul_f32_e32 v154, 0xbeb8f4ab, v118
	s_load_dwordx2 s[6:7], s[4:5], 0x20
	s_load_dwordx2 s[8:9], s[4:5], 0x8
	v_add_f32_e32 v25, v153, v25
	v_fma_f32 v153, v64, s10, -v154
	v_add_f32_e32 v25, v153, v25
	v_mul_f32_e32 v153, 0xbf4c4adb, v128
	v_fma_f32 v161, v68, s20, -v153
	v_add_f32_e32 v25, v161, v25
	s_waitcnt lgkmcnt(0)
	s_barrier
	s_and_saveexec_b64 s[2:3], s[0:1]
	s_cbranch_execz .LBB0_7
; %bb.6:
	v_mul_f32_e32 v217, 0xbe3c28d5, v74
	v_mov_b32_e32 v161, v217
	v_mul_f32_e32 v218, 0x3eb8f4ab, v79
	v_fmac_f32_e32 v161, 0xbf7ba420, v45
	v_mov_b32_e32 v162, v218
	v_add_f32_e32 v161, v161, v1
	v_fmac_f32_e32 v162, 0x3f6eb680, v47
	v_mul_f32_e32 v219, 0xbf06c442, v83
	v_add_f32_e32 v161, v162, v161
	v_mov_b32_e32 v162, v219
	v_fmac_f32_e32 v162, 0xbf59a7d5, v49
	v_mul_f32_e32 v220, 0x3f2c7751, v89
	v_add_f32_e32 v161, v162, v161
	v_mov_b32_e32 v162, v220
	;; [unrolled: 4-line block ×6, first 2 shown]
	v_fmac_f32_e32 v162, 0x3dbcf732, v68
	v_mov_b32_e32 v165, v225
	v_mul_f32_e32 v225, 0xbe3c28d5, v72
	v_add_f32_e32 v162, v162, v161
	v_fma_f32 v161, v44, s19, -v225
	v_mov_b32_e32 v166, v226
	v_mul_f32_e32 v226, 0x3eb8f4ab, v76
	v_add_f32_e32 v161, v161, v0
	v_fma_f32 v163, v46, s10, -v226
	v_mul_f32_e32 v227, 0xbf06c442, v80
	v_add_f32_e32 v161, v163, v161
	v_fma_f32 v163, v48, s21, -v227
	;; [unrolled: 3-line block ×7, first 2 shown]
	v_mul_f32_e32 v233, 0xbf06c442, v74
	v_add_f32_e32 v161, v163, v161
	v_mov_b32_e32 v163, v233
	v_mul_f32_e32 v234, 0x3f65296c, v79
	v_fmac_f32_e32 v163, 0xbf59a7d5, v45
	v_mov_b32_e32 v164, v234
	v_add_f32_e32 v163, v163, v1
	v_fmac_f32_e32 v164, 0x3ee437d1, v47
	v_mul_f32_e32 v235, 0xbf7ee86f, v83
	v_add_f32_e32 v163, v164, v163
	v_mov_b32_e32 v164, v235
	v_fmac_f32_e32 v164, 0x3dbcf732, v49
	v_mul_f32_e32 v236, 0x3f4c4adb, v89
	v_add_f32_e32 v163, v164, v163
	v_mov_b32_e32 v164, v236
	;; [unrolled: 4-line block ×6, first 2 shown]
	v_fmac_f32_e32 v164, 0xbe8c1d8e, v68
	v_mul_f32_e32 v241, 0xbf06c442, v72
	v_add_f32_e32 v164, v164, v163
	v_fma_f32 v163, v44, s21, -v241
	v_mul_f32_e32 v242, 0x3f65296c, v76
	v_add_f32_e32 v163, v163, v0
	v_fma_f32 v243, v46, s16, -v242
	v_add_f32_e32 v163, v243, v163
	v_mul_f32_e32 v243, 0xbf7ee86f, v80
	v_fma_f32 v244, v48, s17, -v243
	v_add_f32_e32 v163, v244, v163
	v_mul_f32_e32 v244, 0x3f4c4adb, v84
	;; [unrolled: 3-line block ×6, first 2 shown]
	v_fma_f32 v249, v65, s18, -v248
	v_mul_f32_e32 v74, 0xbf4c4adb, v74
	v_add_f32_e32 v163, v249, v163
	v_mov_b32_e32 v249, v74
	v_mul_f32_e32 v250, 0x3f763a35, v79
	v_fmac_f32_e32 v249, 0xbf1a4643, v45
	v_mov_b32_e32 v79, v250
	v_add_f32_e32 v249, v249, v1
	v_fmac_f32_e32 v79, 0xbe8c1d8e, v47
	v_add_f32_e32 v79, v79, v249
	v_mul_f32_e32 v249, 0xbeb8f4ab, v83
	v_mov_b32_e32 v83, v249
	v_fmac_f32_e32 v83, 0x3f6eb680, v49
	v_mul_f32_e32 v251, 0xbf06c442, v89
	v_add_f32_e32 v79, v83, v79
	v_mov_b32_e32 v83, v251
	v_fmac_f32_e32 v83, 0xbf59a7d5, v51
	v_mul_f32_e32 v102, 0x3f7ee86f, v102
	v_add_f32_e32 v79, v83, v79
	;; [unrolled: 4-line block ×5, first 2 shown]
	v_mov_b32_e32 v83, v128
	v_add_f32_e32 v2, v2, v0
	v_fmac_f32_e32 v83, 0x3ee437d1, v68
	v_mul_f32_e32 v72, 0xbf4c4adb, v72
	v_add_f32_e32 v3, v3, v1
	v_add_f32_e32 v2, v8, v2
	;; [unrolled: 1-line block ×3, first 2 shown]
	v_fma_f32 v79, v44, s20, -v72
	v_mul_f32_e32 v76, 0x3f763a35, v76
	v_add_f32_e32 v3, v9, v3
	v_add_f32_e32 v2, v10, v2
	;; [unrolled: 1-line block ×3, first 2 shown]
	v_fma_f32 v83, v46, s18, -v76
	v_mul_f32_e32 v253, 0xbeb8f4ab, v80
	v_add_f32_e32 v3, v11, v3
	v_add_f32_e32 v2, v16, v2
	v_mul_f32_e32 v175, 0x3f6eb680, v45
	v_add_f32_e32 v79, v83, v79
	v_fma_f32 v80, v48, s10, -v253
	v_mul_f32_e32 v254, 0xbf06c442, v84
	v_add_f32_e32 v3, v17, v3
	v_add_f32_e32 v2, v18, v2
	v_mul_f32_e32 v176, 0x3f3d2fb0, v47
	v_add_f32_e32 v79, v80, v79
	v_fma_f32 v80, v50, s21, -v254
	v_mul_f32_e32 v94, 0x3f7ee86f, v94
	v_add_f32_e32 v54, v54, v175
	v_add_f32_e32 v3, v19, v3
	;; [unrolled: 1-line block ×3, first 2 shown]
	v_mul_f32_e32 v186, 0x3ee437d1, v49
	v_add_f32_e32 v79, v80, v79
	v_fma_f32 v80, v53, s17, -v94
	v_mul_f32_e32 v255, 0xbf2c7751, v107
	v_add_f32_e32 v54, v54, v1
	v_add_f32_e32 v58, v58, v176
	;; [unrolled: 1-line block ×4, first 2 shown]
	v_mul_f32_e32 v173, 0xbe8c1d8e, v44
	v_mul_f32_e32 v196, 0x3dbcf732, v51
	v_add_f32_e32 v79, v80, v79
	v_fma_f32 v80, v56, s11, -v255
	v_mul_f32_e32 v105, 0xbe3c28d5, v114
	v_add_f32_e32 v54, v58, v54
	v_add_f32_e32 v58, v63, v186
	;; [unrolled: 1-line block ×4, first 2 shown]
	v_mul_f32_e32 v183, 0xbf59a7d5, v46
	v_mul_f32_e32 v206, 0xbe8c1d8e, v55
	v_add_f32_e32 v79, v80, v79
	v_fma_f32 v80, v60, s19, -v105
	v_mul_f32_e32 v119, 0x3f65296c, v119
	v_sub_f32_e32 v145, v173, v145
	v_add_f32_e32 v54, v58, v54
	v_add_f32_e32 v58, v67, v196
	;; [unrolled: 1-line block ×4, first 2 shown]
	v_fma_f32 v4, v45, s19, -v217
	v_fma_f32 v6, v45, s21, -v233
	v_mul_f32_e32 v184, 0xbf59a7d5, v47
	v_mul_f32_e32 v193, 0x3f3d2fb0, v48
	;; [unrolled: 1-line block ×3, first 2 shown]
	v_add_f32_e32 v79, v80, v79
	v_fma_f32 v80, v65, s16, -v119
	v_sub_f32_e32 v152, v183, v152
	v_add_f32_e32 v145, v145, v0
	v_add_f32_e32 v54, v58, v54
	;; [unrolled: 1-line block ×5, first 2 shown]
	v_fma_f32 v5, v47, s10, -v218
	v_add_f32_e32 v6, v6, v1
	v_fma_f32 v7, v47, s16, -v234
	v_mul_f32_e32 v174, 0xbe8c1d8e, v45
	v_add_f32_e32 v107, v80, v79
	v_add_f32_e32 v80, v160, v184
	v_mul_f32_e32 v160, 0xbf59a7d5, v64
	v_add_f32_e32 v145, v152, v145
	v_sub_f32_e32 v146, v193, v146
	v_add_f32_e32 v54, v58, v54
	v_add_f32_e32 v58, v73, v216
	;; [unrolled: 1-line block ×3, first 2 shown]
	v_fma_f32 v5, v49, s21, -v219
	v_add_f32_e32 v6, v7, v6
	v_fma_f32 v7, v49, s17, -v235
	v_add_f32_e32 v79, v159, v174
	v_add_f32_e32 v145, v146, v145
	v_mul_f32_e32 v146, 0xbf7ba420, v68
	v_add_f32_e32 v54, v58, v54
	v_add_f32_e32 v58, v77, v160
	;; [unrolled: 1-line block ×3, first 2 shown]
	v_fma_f32 v5, v51, s11, -v220
	v_add_f32_e32 v6, v7, v6
	v_fma_f32 v7, v51, s20, -v236
	v_mul_f32_e32 v168, 0x3f3d2fb0, v45
	v_mul_f32_e32 v170, 0x3ee437d1, v45
	;; [unrolled: 1-line block ×4, first 2 shown]
	v_add_f32_e32 v79, v79, v1
	v_add_f32_e32 v54, v58, v54
	;; [unrolled: 1-line block ×4, first 2 shown]
	v_fma_f32 v5, v55, s20, -v221
	v_add_f32_e32 v6, v7, v6
	v_fma_f32 v7, v55, s10, -v237
	v_mul_f32_e32 v204, 0x3ee437d1, v51
	v_add_f32_e32 v79, v80, v79
	v_add_f32_e32 v80, v158, v194
	;; [unrolled: 1-line block ×6, first 2 shown]
	v_mul_f32_e32 v54, 0x3f6eb680, v44
	v_add_f32_e32 v4, v5, v4
	v_fma_f32 v5, v59, s16, -v222
	v_add_f32_e32 v6, v7, v6
	v_fma_f32 v7, v59, s19, -v238
	v_fma_f32 v8, v45, s20, -v74
	v_mul_f32_e32 v167, 0x3f3d2fb0, v44
	v_mul_f32_e32 v169, 0x3ee437d1, v44
	;; [unrolled: 1-line block ×4, first 2 shown]
	v_add_f32_e32 v79, v80, v79
	v_add_f32_e32 v157, v157, v204
	;; [unrolled: 1-line block ×5, first 2 shown]
	v_sub_f32_e32 v52, v54, v52
	v_mul_f32_e32 v54, 0x3f3d2fb0, v46
	v_add_f32_e32 v4, v5, v4
	v_fma_f32 v5, v64, s18, -v223
	v_add_f32_e32 v6, v7, v6
	v_fma_f32 v7, v64, s11, -v239
	v_add_f32_e32 v1, v8, v1
	v_fma_f32 v8, v47, s18, -v250
	v_mul_f32_e32 v177, 0x3dbcf732, v46
	v_mul_f32_e32 v178, 0x3dbcf732, v47
	;; [unrolled: 1-line block ×8, first 2 shown]
	v_add_f32_e32 v79, v157, v79
	v_add_f32_e32 v156, v156, v214
	v_sub_f32_e32 v129, v171, v129
	v_sub_f32_e32 v109, v169, v109
	;; [unrolled: 1-line block ×3, first 2 shown]
	v_add_f32_e32 v52, v52, v0
	v_sub_f32_e32 v54, v54, v57
	v_add_f32_e32 v4, v5, v4
	v_fma_f32 v5, v68, s17, -v224
	v_fmac_f32_e32 v225, 0xbf7ba420, v44
	v_add_f32_e32 v6, v7, v6
	v_fma_f32 v7, v68, s18, -v240
	v_fmac_f32_e32 v241, 0xbf59a7d5, v44
	;; [unrolled: 3-line block ×3, first 2 shown]
	v_mul_f32_e32 v187, 0xbf1a4643, v48
	v_mul_f32_e32 v188, 0xbf1a4643, v49
	;; [unrolled: 1-line block ×7, first 2 shown]
	v_add_f32_e32 v79, v156, v79
	v_add_f32_e32 v155, v155, v158
	;; [unrolled: 1-line block ×4, first 2 shown]
	v_sub_f32_e32 v130, v181, v130
	v_add_f32_e32 v121, v121, v180
	v_add_f32_e32 v109, v109, v0
	v_sub_f32_e32 v110, v179, v110
	v_add_f32_e32 v92, v92, v178
	v_add_f32_e32 v85, v85, v0
	v_sub_f32_e32 v86, v177, v86
	v_add_f32_e32 v52, v54, v52
	v_sub_f32_e32 v54, v185, v61
	v_add_f32_e32 v3, v13, v3
	v_add_f32_e32 v2, v12, v2
	;; [unrolled: 1-line block ×4, first 2 shown]
	v_fmac_f32_e32 v226, 0x3f6eb680, v46
	v_add_f32_e32 v7, v7, v6
	v_add_f32_e32 v6, v241, v0
	v_fmac_f32_e32 v242, 0x3ee437d1, v46
	v_add_f32_e32 v1, v8, v1
	v_fma_f32 v8, v51, s21, -v251
	v_add_f32_e32 v0, v72, v0
	v_fmac_f32_e32 v76, 0xbe8c1d8e, v46
	v_mul_f32_e32 v197, 0xbf7ba420, v50
	v_mul_f32_e32 v198, 0xbf7ba420, v51
	;; [unrolled: 1-line block ×8, first 2 shown]
	v_add_f32_e32 v79, v155, v79
	v_mul_f32_e32 v155, 0x3f6eb680, v64
	v_add_f32_e32 v134, v135, v134
	v_add_f32_e32 v135, v137, v192
	v_add_f32_e32 v129, v130, v129
	v_sub_f32_e32 v130, v191, v131
	v_add_f32_e32 v120, v121, v120
	v_add_f32_e32 v121, v122, v190
	v_add_f32_e32 v109, v110, v109
	v_sub_f32_e32 v110, v189, v111
	;; [unrolled: 4-line block ×3, first 2 shown]
	v_add_f32_e32 v52, v54, v52
	v_sub_f32_e32 v54, v195, v66
	v_add_f32_e32 v3, v15, v3
	v_add_f32_e32 v2, v14, v2
	;; [unrolled: 1-line block ×3, first 2 shown]
	v_fmac_f32_e32 v227, 0xbf59a7d5, v48
	v_add_f32_e32 v6, v242, v6
	v_fmac_f32_e32 v243, 0x3dbcf732, v48
	v_add_f32_e32 v1, v8, v1
	v_fma_f32 v8, v55, s17, -v102
	v_add_f32_e32 v0, v76, v0
	v_fmac_f32_e32 v253, 0x3f6eb680, v48
	v_mul_f32_e32 v207, 0xbf59a7d5, v53
	v_mul_f32_e32 v208, 0xbf59a7d5, v55
	;; [unrolled: 1-line block ×8, first 2 shown]
	v_add_f32_e32 v154, v154, v155
	v_sub_f32_e32 v147, v203, v147
	v_add_f32_e32 v134, v135, v134
	v_add_f32_e32 v135, v139, v202
	v_add_f32_e32 v129, v130, v129
	v_sub_f32_e32 v130, v201, v132
	v_add_f32_e32 v120, v121, v120
	v_add_f32_e32 v121, v123, v200
	;; [unrolled: 4-line block ×3, first 2 shown]
	v_add_f32_e32 v85, v86, v85
	v_sub_f32_e32 v86, v197, v88
	v_add_f32_e32 v52, v54, v52
	v_sub_f32_e32 v54, v205, v69
	v_add_f32_e32 v3, v31, v3
	v_add_f32_e32 v2, v30, v2
	;; [unrolled: 1-line block ×3, first 2 shown]
	v_fmac_f32_e32 v228, 0x3f3d2fb0, v50
	v_add_f32_e32 v6, v243, v6
	v_fmac_f32_e32 v244, 0xbf1a4643, v50
	v_add_f32_e32 v1, v8, v1
	v_fma_f32 v8, v59, s11, -v252
	v_add_f32_e32 v0, v253, v0
	v_fmac_f32_e32 v254, 0xbf59a7d5, v50
	v_mul_f32_e32 v82, 0xbe8c1d8e, v56
	v_mul_f32_e32 v89, 0xbe8c1d8e, v59
	;; [unrolled: 1-line block ×8, first 2 shown]
	v_add_f32_e32 v79, v154, v79
	v_mul_f32_e32 v154, 0xbf1a4643, v68
	v_add_f32_e32 v145, v147, v145
	v_sub_f32_e32 v148, v213, v148
	v_add_f32_e32 v134, v135, v134
	v_add_f32_e32 v135, v141, v212
	v_add_f32_e32 v129, v130, v129
	v_sub_f32_e32 v130, v211, v133
	v_add_f32_e32 v120, v121, v120
	v_add_f32_e32 v121, v124, v210
	;; [unrolled: 4-line block ×3, first 2 shown]
	v_add_f32_e32 v85, v86, v85
	v_sub_f32_e32 v86, v207, v90
	v_add_f32_e32 v52, v54, v52
	v_sub_f32_e32 v54, v215, v71
	v_add_f32_e32 v3, v33, v3
	v_add_f32_e32 v2, v32, v2
	;; [unrolled: 1-line block ×3, first 2 shown]
	v_fmac_f32_e32 v229, 0xbf1a4643, v53
	v_add_f32_e32 v6, v244, v6
	v_fmac_f32_e32 v245, 0x3f6eb680, v53
	v_add_f32_e32 v1, v8, v1
	v_fma_f32 v8, v64, s19, -v118
	v_add_f32_e32 v0, v254, v0
	v_fmac_f32_e32 v94, 0x3dbcf732, v53
	v_mul_f32_e32 v156, 0x3ee437d1, v60
	v_mul_f32_e32 v158, 0x3ee437d1, v64
	;; [unrolled: 1-line block ×3, first 2 shown]
	v_add_f32_e32 v153, v153, v154
	v_mul_f32_e32 v154, 0x3dbcf732, v64
	v_mul_f32_e32 v173, 0xbf1a4643, v60
	;; [unrolled: 1-line block ×5, first 2 shown]
	v_add_f32_e32 v145, v148, v145
	v_sub_f32_e32 v80, v80, v149
	v_add_f32_e32 v134, v135, v134
	v_add_f32_e32 v84, v142, v84
	v_add_f32_e32 v129, v130, v129
	v_sub_f32_e32 v83, v83, v136
	v_add_f32_e32 v120, v121, v120
	v_add_f32_e32 v114, v125, v114
	;; [unrolled: 4-line block ×3, first 2 shown]
	v_add_f32_e32 v85, v86, v85
	v_sub_f32_e32 v82, v82, v93
	v_add_f32_e32 v52, v54, v52
	v_sub_f32_e32 v54, v157, v75
	v_add_f32_e32 v3, v35, v3
	v_add_f32_e32 v2, v34, v2
	v_mov_b32_e32 v225, v165
	v_add_f32_e32 v4, v229, v4
	v_fmac_f32_e32 v230, 0x3ee437d1, v56
	v_add_f32_e32 v6, v245, v6
	v_fmac_f32_e32 v246, 0xbf7ba420, v56
	v_add_f32_e32 v1, v8, v1
	v_fma_f32 v8, v68, s16, -v128
	v_add_f32_e32 v0, v94, v0
	v_fmac_f32_e32 v255, 0x3f3d2fb0, v56
	v_mul_f32_e32 v184, 0x3f6eb680, v65
	v_mul_f32_e32 v147, 0x3f6eb680, v68
	;; [unrolled: 1-line block ×5, first 2 shown]
	v_add_f32_e32 v145, v80, v145
	v_mul_f32_e32 v194, 0x3f3d2fb0, v68
	v_sub_f32_e32 v150, v152, v150
	v_mul_f32_e32 v152, 0xbf1a4643, v65
	v_add_f32_e32 v84, v84, v134
	v_add_f32_e32 v134, v143, v174
	v_add_f32_e32 v83, v83, v129
	v_sub_f32_e32 v129, v173, v138
	v_add_f32_e32 v114, v114, v120
	v_add_f32_e32 v120, v126, v154
	v_add_f32_e32 v109, v110, v109
	v_sub_f32_e32 v110, v155, v116
	v_add_f32_e32 v89, v89, v91
	v_add_f32_e32 v91, v101, v158
	v_add_f32_e32 v82, v82, v85
	v_sub_f32_e32 v85, v156, v96
	v_add_f32_e32 v52, v54, v52
	v_sub_f32_e32 v54, v183, v78
	v_add_f32_e32 v3, v37, v3
	v_add_f32_e32 v2, v36, v2
	;; [unrolled: 1-line block ×3, first 2 shown]
	v_fmac_f32_e32 v231, 0xbe8c1d8e, v60
	v_add_f32_e32 v6, v246, v6
	v_fmac_f32_e32 v247, 0x3f3d2fb0, v60
	v_add_f32_e32 v1, v8, v1
	v_add_f32_e32 v0, v255, v0
	v_fmac_f32_e32 v105, 0xbf7ba420, v60
	v_mul_lo_u16_e32 v8, 17, v225
	v_add_f32_e32 v80, v153, v79
	v_add_f32_e32 v79, v150, v145
	v_sub_f32_e32 v145, v152, v151
	v_add_f32_e32 v84, v134, v84
	v_add_f32_e32 v134, v144, v194
	v_add_f32_e32 v83, v129, v83
	v_sub_f32_e32 v129, v149, v140
	v_add_f32_e32 v114, v120, v114
	v_add_f32_e32 v120, v127, v148
	v_add_f32_e32 v109, v110, v109
	v_sub_f32_e32 v110, v193, v117
	v_add_f32_e32 v89, v91, v89
	v_add_f32_e32 v91, v106, v147
	v_add_f32_e32 v82, v85, v82
	v_sub_f32_e32 v85, v184, v98
	v_add_f32_e32 v57, v54, v52
	v_add_f32_e32 v3, v43, v3
	v_add_f32_e32 v2, v42, v2
	v_mov_b32_e32 v226, v166
	v_add_f32_e32 v4, v231, v4
	v_fmac_f32_e32 v232, 0x3dbcf732, v65
	v_add_f32_e32 v6, v247, v6
	v_fmac_f32_e32 v248, 0xbe8c1d8e, v65
	;; [unrolled: 2-line block ×3, first 2 shown]
	v_add_lshl_u32 v8, v62, v8, 3
	v_add_f32_e32 v79, v145, v79
	v_add_f32_e32 v84, v134, v84
	;; [unrolled: 1-line block ×10, first 2 shown]
	ds_write2_b64 v8, v[2:3], v[57:58] offset1:1
	ds_write2_b64 v8, v[88:89], v[113:114] offset0:2 offset1:3
	ds_write2_b64 v8, v[83:84], v[79:80] offset0:4 offset1:5
	ds_write2_b64 v8, v[107:108], v[163:164] offset0:6 offset1:7
	ds_write2_b64 v8, v[161:162], v[4:5] offset0:8 offset1:9
	ds_write2_b64 v8, v[6:7], v[0:1] offset0:10 offset1:11
	ds_write2_b64 v8, v[24:25], v[26:27] offset0:12 offset1:13
	ds_write2_b64 v8, v[38:39], v[40:41] offset0:14 offset1:15
	ds_write_b64 v8, v[28:29] offset:128
.LBB0_7:
	s_or_b64 exec, exec, s[2:3]
	v_add_lshl_u32 v106, v62, v225, 3
	v_add_u32_e32 v0, 0x400, v106
	s_waitcnt lgkmcnt(0)
	s_barrier
	ds_read2_b64 v[42:45], v0 offset0:93 offset1:195
	v_add_u32_e32 v0, 0xc00, v106
	ds_read2_b64 v[46:49], v0 offset0:58 offset1:160
	v_add_u32_e32 v0, 0x1000, v106
	;; [unrolled: 2-line block ×4, first 2 shown]
	ds_read2_b64 v[32:35], v106 offset1:102
	ds_read2_b64 v[58:61], v0 offset0:81 offset1:183
	v_cmp_gt_u16_e64 s[2:3], 17, v225
	s_and_saveexec_b64 s[4:5], s[2:3]
	s_cbranch_execz .LBB0_9
; %bb.8:
	v_add_u32_e32 v0, 0x600, v106
	ds_read2_b64 v[24:27], v0 offset0:12 offset1:233
	v_add_u32_e32 v0, 0x1400, v106
	ds_read2_b64 v[38:41], v0 offset0:6 offset1:227
	v_add_u32_e32 v0, 0x2200, v106
	ds_read2_b64 v[28:31], v0 offset1:221
.LBB0_9:
	s_or_b64 exec, exec, s[4:5]
	s_movk_i32 s10, 0xf1
	v_mul_lo_u16_sdwa v8, v225, s10 dst_sel:DWORD dst_unused:UNUSED_PAD src0_sel:BYTE_0 src1_sel:DWORD
	v_lshrrev_b16_e32 v67, 12, v8
	v_mul_lo_u16_e32 v8, 17, v67
	v_add_u32_e32 v0, 0xcc, v225
	s_mov_b32 s4, 0xf0f1
	v_sub_u16_e32 v8, v225, v8
	v_mul_u32_u24_sdwa v1, v0, s4 dst_sel:DWORD dst_unused:UNUSED_PAD src0_sel:WORD_0 src1_sel:DWORD
	v_and_b32_e32 v68, 0xff, v8
	v_add_u16_e32 v8, 0x66, v225
	v_lshrrev_b32_e32 v1, 20, v1
	v_mul_lo_u16_sdwa v9, v8, s10 dst_sel:DWORD dst_unused:UNUSED_PAD src0_sel:BYTE_0 src1_sel:DWORD
	v_mul_lo_u16_e32 v1, 17, v1
	v_lshrrev_b16_e32 v69, 12, v9
	v_sub_u16_e32 v108, v0, v1
	v_mul_lo_u16_e32 v9, 17, v69
	v_mul_lo_u16_e32 v0, 40, v108
	v_mad_u64_u32 v[63:64], s[4:5], v68, 40, s[8:9]
	v_sub_u16_e32 v8, v8, v9
	v_mov_b32_e32 v1, s9
	v_add_co_u32_e32 v36, vcc, s8, v0
	v_and_b32_e32 v70, 0xff, v8
	v_addc_co_u32_e32 v37, vcc, 0, v1, vcc
	v_mad_u64_u32 v[65:66], s[4:5], v70, 40, s[8:9]
	global_load_dwordx4 v[4:7], v[36:37], off offset:16
	global_load_dwordx4 v[0:3], v[36:37], off
	global_load_dwordx4 v[16:19], v[63:64], off offset:16
	global_load_dwordx4 v[20:23], v[63:64], off
	global_load_dwordx2 v[87:88], v[63:64], off offset:32
	global_load_dwordx4 v[12:15], v[65:66], off
	global_load_dwordx4 v[8:11], v[65:66], off offset:16
	global_load_dwordx2 v[85:86], v[65:66], off offset:32
	global_load_dwordx2 v[83:84], v[36:37], off offset:32
	s_load_dwordx4 s[4:7], s[6:7], 0x0
	s_waitcnt vmcnt(0) lgkmcnt(0)
	s_barrier
	v_mul_f32_e32 v74, v59, v88
	v_mul_f32_e32 v65, v41, v5
	;; [unrolled: 1-line block ×6, first 2 shown]
	v_fma_f32 v72, v26, v0, -v36
	v_fma_f32 v65, v40, v4, -v65
	v_fma_f32 v71, v28, v6, -v71
	v_mul_f32_e32 v36, v47, v23
	v_mul_f32_e32 v40, v55, v19
	;; [unrolled: 1-line block ×5, first 2 shown]
	v_fma_f32 v73, v38, v2, -v37
	v_mul_f32_e32 v38, v51, v17
	v_mul_f32_e32 v76, v45, v13
	;; [unrolled: 1-line block ×4, first 2 shown]
	v_fma_f32 v36, v46, v22, -v36
	v_fma_f32 v40, v54, v18, -v40
	v_fmac_f32_e32 v28, v29, v6
	v_mul_f32_e32 v29, v31, v84
	v_fmac_f32_e32 v63, v27, v0
	v_fmac_f32_e32 v64, v39, v2
	;; [unrolled: 1-line block ×3, first 2 shown]
	v_mul_f32_e32 v27, v42, v21
	v_mul_f32_e32 v37, v46, v23
	;; [unrolled: 1-line block ×5, first 2 shown]
	v_fma_f32 v38, v50, v16, -v38
	v_fma_f32 v50, v44, v12, -v76
	;; [unrolled: 1-line block ×3, first 2 shown]
	v_fmac_f32_e32 v79, v49, v14
	v_fma_f32 v48, v30, v83, -v29
	v_mul_f32_e32 v49, v30, v84
	v_add_f32_e32 v30, v36, v40
	v_mul_f32_e32 v26, v43, v21
	v_fmac_f32_e32 v27, v43, v20
	v_fmac_f32_e32 v37, v47, v22
	;; [unrolled: 1-line block ×3, first 2 shown]
	v_fma_f32 v43, -0.5, v30, v32
	v_fmac_f32_e32 v39, v51, v16
	v_sub_f32_e32 v30, v37, v41
	v_mov_b32_e32 v51, v43
	v_mul_f32_e32 v80, v53, v9
	v_fmac_f32_e32 v51, 0x3f5db3d7, v30
	v_fmac_f32_e32 v43, 0xbf5db3d7, v30
	v_add_f32_e32 v30, v33, v37
	v_mul_f32_e32 v81, v52, v9
	v_fmac_f32_e32 v77, v45, v12
	v_fma_f32 v45, v52, v8, -v80
	v_add_f32_e32 v52, v30, v41
	v_add_f32_e32 v30, v37, v41
	v_fmac_f32_e32 v81, v53, v8
	v_fma_f32 v53, -0.5, v30, v33
	v_fma_f32 v26, v42, v20, -v26
	v_sub_f32_e32 v30, v36, v40
	v_mov_b32_e32 v41, v53
	v_fma_f32 v42, v58, v87, -v74
	v_add_f32_e32 v29, v32, v36
	v_fmac_f32_e32 v41, 0xbf5db3d7, v30
	v_fmac_f32_e32 v53, 0x3f5db3d7, v30
	v_add_f32_e32 v30, v26, v38
	v_mul_f32_e32 v75, v58, v88
	v_add_f32_e32 v29, v29, v40
	v_add_f32_e32 v40, v30, v42
	;; [unrolled: 1-line block ×3, first 2 shown]
	v_fmac_f32_e32 v75, v59, v87
	v_fmac_f32_e32 v26, -0.5, v30
	v_sub_f32_e32 v30, v39, v75
	v_mov_b32_e32 v33, v26
	v_fmac_f32_e32 v33, 0x3f5db3d7, v30
	v_fmac_f32_e32 v26, 0xbf5db3d7, v30
	v_add_f32_e32 v30, v27, v39
	v_add_f32_e32 v54, v30, v75
	;; [unrolled: 1-line block ×3, first 2 shown]
	v_fmac_f32_e32 v27, -0.5, v30
	v_sub_f32_e32 v30, v38, v42
	v_mov_b32_e32 v37, v27
	v_fmac_f32_e32 v27, 0x3f5db3d7, v30
	v_mul_f32_e32 v42, -0.5, v26
	v_mul_f32_e32 v82, v57, v11
	v_fmac_f32_e32 v42, 0x3f5db3d7, v27
	v_mul_f32_e32 v27, -0.5, v27
	v_fma_f32 v46, v56, v10, -v82
	v_fmac_f32_e32 v37, 0xbf5db3d7, v30
	v_mul_f32_e32 v55, 0xbf5db3d7, v33
	v_fmac_f32_e32 v27, 0xbf5db3d7, v26
	v_mul_f32_e32 v89, v56, v11
	v_mul_f32_e32 v39, 0x3f5db3d7, v37
	v_add_f32_e32 v36, v43, v42
	v_fmac_f32_e32 v55, 0.5, v37
	v_add_f32_e32 v37, v53, v27
	v_sub_f32_e32 v42, v43, v42
	v_sub_f32_e32 v43, v53, v27
	v_add_f32_e32 v27, v44, v46
	v_fmac_f32_e32 v89, v57, v10
	v_fmac_f32_e32 v39, 0.5, v33
	v_fma_f32 v27, -0.5, v27, v34
	v_add_f32_e32 v30, v29, v40
	v_add_f32_e32 v32, v51, v39
	v_sub_f32_e32 v38, v29, v40
	v_sub_f32_e32 v40, v51, v39
	v_add_f32_e32 v26, v34, v44
	v_sub_f32_e32 v29, v79, v89
	v_mov_b32_e32 v34, v27
	v_add_f32_e32 v51, v79, v89
	v_fmac_f32_e32 v34, 0x3f5db3d7, v29
	v_fmac_f32_e32 v27, 0xbf5db3d7, v29
	v_add_f32_e32 v29, v35, v79
	v_fmac_f32_e32 v35, -0.5, v51
	v_mul_f32_e32 v90, v61, v86
	v_sub_f32_e32 v44, v44, v46
	v_mov_b32_e32 v51, v35
	v_fma_f32 v47, v60, v85, -v90
	v_fmac_f32_e32 v51, 0xbf5db3d7, v44
	v_fmac_f32_e32 v35, 0x3f5db3d7, v44
	v_add_f32_e32 v44, v50, v45
	v_mul_f32_e32 v91, v60, v86
	v_fmac_f32_e32 v49, v31, v83
	v_add_f32_e32 v31, v52, v54
	v_sub_f32_e32 v39, v52, v54
	v_add_f32_e32 v52, v44, v47
	v_add_f32_e32 v44, v45, v47
	v_fmac_f32_e32 v91, v61, v85
	v_fmac_f32_e32 v50, -0.5, v44
	v_sub_f32_e32 v44, v81, v91
	v_mov_b32_e32 v53, v50
	v_fmac_f32_e32 v53, 0x3f5db3d7, v44
	v_fmac_f32_e32 v50, 0xbf5db3d7, v44
	v_add_f32_e32 v44, v77, v81
	v_add_f32_e32 v54, v44, v91
	;; [unrolled: 1-line block ×3, first 2 shown]
	v_fmac_f32_e32 v77, -0.5, v44
	v_sub_f32_e32 v44, v45, v47
	v_mov_b32_e32 v47, v77
	v_fmac_f32_e32 v47, 0xbf5db3d7, v44
	v_add_f32_e32 v33, v41, v55
	v_sub_f32_e32 v41, v41, v55
	v_fmac_f32_e32 v77, 0x3f5db3d7, v44
	v_mul_f32_e32 v55, 0x3f5db3d7, v47
	v_mul_f32_e32 v59, -0.5, v50
	v_fmac_f32_e32 v55, 0.5, v53
	v_fmac_f32_e32 v59, 0x3f5db3d7, v77
	v_add_f32_e32 v26, v26, v46
	v_add_f32_e32 v46, v34, v55
	;; [unrolled: 1-line block ×3, first 2 shown]
	v_mul_f32_e32 v53, 0xbf5db3d7, v53
	v_sub_f32_e32 v60, v34, v55
	v_sub_f32_e32 v34, v27, v59
	v_add_f32_e32 v27, v73, v71
	v_add_f32_e32 v44, v26, v52
	v_fmac_f32_e32 v53, 0.5, v47
	v_sub_f32_e32 v58, v26, v52
	v_add_f32_e32 v26, v24, v73
	v_fmac_f32_e32 v24, -0.5, v27
	v_add_f32_e32 v47, v51, v53
	v_sub_f32_e32 v61, v51, v53
	v_sub_f32_e32 v27, v64, v28
	v_mov_b32_e32 v53, v24
	v_fmac_f32_e32 v53, 0x3f5db3d7, v27
	v_fmac_f32_e32 v24, 0xbf5db3d7, v27
	v_add_f32_e32 v27, v25, v64
	v_add_f32_e32 v27, v27, v28
	v_add_f32_e32 v28, v64, v28
	v_add_f32_e32 v29, v29, v89
	v_fmac_f32_e32 v25, -0.5, v28
	v_add_f32_e32 v45, v29, v54
	v_sub_f32_e32 v59, v29, v54
	v_sub_f32_e32 v28, v73, v71
	v_mov_b32_e32 v55, v25
	v_add_f32_e32 v29, v65, v48
	v_fmac_f32_e32 v55, 0xbf5db3d7, v28
	v_fmac_f32_e32 v25, 0x3f5db3d7, v28
	v_add_f32_e32 v28, v72, v65
	v_fmac_f32_e32 v72, -0.5, v29
	v_sub_f32_e32 v29, v66, v49
	v_mov_b32_e32 v51, v72
	v_fmac_f32_e32 v51, 0x3f5db3d7, v29
	v_fmac_f32_e32 v72, 0xbf5db3d7, v29
	v_add_f32_e32 v29, v63, v66
	v_add_f32_e32 v29, v29, v49
	;; [unrolled: 1-line block ×4, first 2 shown]
	v_fmac_f32_e32 v63, -0.5, v49
	v_sub_f32_e32 v48, v65, v48
	v_mov_b32_e32 v49, v63
	v_fmac_f32_e32 v63, 0x3f5db3d7, v48
	v_mul_f32_e32 v64, -0.5, v72
	v_mul_f32_e32 v74, -0.5, v77
	v_fmac_f32_e32 v64, 0x3f5db3d7, v63
	v_fmac_f32_e32 v74, 0xbf5db3d7, v50
	v_add_f32_e32 v50, v24, v64
	v_sub_f32_e32 v89, v24, v64
	v_mul_u32_u24_e32 v24, 0x66, v67
	v_fmac_f32_e32 v49, 0xbf5db3d7, v48
	v_add_u32_e32 v24, v24, v68
	v_mul_f32_e32 v54, 0x3f5db3d7, v49
	v_mul_f32_e32 v65, 0xbf5db3d7, v51
	v_mul_f32_e32 v63, -0.5, v63
	v_add_lshl_u32 v109, v62, v24, 3
	v_mul_u32_u24_e32 v24, 0x66, v69
	v_add_f32_e32 v26, v26, v71
	v_fmac_f32_e32 v54, 0.5, v51
	v_fmac_f32_e32 v65, 0.5, v49
	v_fmac_f32_e32 v63, 0xbf5db3d7, v72
	v_add_u32_e32 v24, v24, v70
	v_add_f32_e32 v48, v53, v54
	v_add_f32_e32 v49, v55, v65
	;; [unrolled: 1-line block ×3, first 2 shown]
	v_sub_f32_e32 v52, v26, v28
	v_sub_f32_e32 v54, v53, v54
	;; [unrolled: 1-line block ×5, first 2 shown]
	v_add_lshl_u32 v110, v62, v24, 3
	v_add_f32_e32 v57, v35, v74
	v_sub_f32_e32 v35, v35, v74
	ds_write2_b64 v109, v[30:31], v[32:33] offset1:17
	ds_write2_b64 v109, v[36:37], v[38:39] offset0:34 offset1:51
	ds_write2_b64 v109, v[40:41], v[42:43] offset0:68 offset1:85
	ds_write2_b64 v110, v[44:45], v[46:47] offset1:17
	ds_write2_b64 v110, v[56:57], v[58:59] offset0:34 offset1:51
	ds_write2_b64 v110, v[60:61], v[34:35] offset0:68 offset1:85
	s_and_saveexec_b64 s[10:11], s[2:3]
	s_cbranch_execz .LBB0_11
; %bb.10:
	v_add_f32_e32 v24, v26, v28
	v_add_lshl_u32 v26, v62, v108, 3
	v_add_f32_e32 v25, v27, v29
	v_add_u32_e32 v27, 0x2000, v26
	ds_write2_b64 v27, v[24:25], v[48:49] offset0:200 offset1:217
	ds_write2_b64 v27, v[50:51], v[52:53] offset0:234 offset1:251
	v_add_u32_e32 v24, 0x2800, v26
	ds_write2_b64 v24, v[54:55], v[89:90] offset0:12 offset1:29
.LBB0_11:
	s_or_b64 exec, exec, s[10:11]
	v_mov_b32_e32 v25, s9
	s_movk_i32 s10, 0x60
	v_mov_b32_e32 v24, s8
	v_mad_u64_u32 v[56:57], s[8:9], v225, s10, v[24:25]
	s_waitcnt lgkmcnt(0)
	s_barrier
	global_load_dwordx4 v[40:43], v[56:57], off offset:680
	global_load_dwordx4 v[32:35], v[56:57], off offset:696
	;; [unrolled: 1-line block ×6, first 2 shown]
	ds_read2_b64 v[56:59], v106 offset1:102
	v_add_u32_e32 v60, 0x400, v106
	v_add_u32_e32 v64, 0x800, v106
	;; [unrolled: 1-line block ×5, first 2 shown]
	ds_read_b64 v[80:81], v106 offset:9792
	ds_read2_b64 v[60:63], v60 offset0:76 offset1:178
	ds_read2_b64 v[64:67], v64 offset0:152 offset1:254
	;; [unrolled: 1-line block ×5, first 2 shown]
	s_mov_b32 s10, 0x3f62ad3f
	s_mov_b32 s9, 0x3f116cb1
	;; [unrolled: 1-line block ×6, first 2 shown]
	s_waitcnt vmcnt(5) lgkmcnt(6)
	v_mul_f32_e32 v82, v59, v41
	v_mul_f32_e32 v93, v58, v41
	s_waitcnt lgkmcnt(4)
	v_mul_f32_e32 v91, v61, v43
	v_mul_f32_e32 v94, v60, v43
	s_waitcnt vmcnt(4) lgkmcnt(3)
	v_mul_f32_e32 v96, v65, v35
	s_waitcnt vmcnt(2) lgkmcnt(2)
	v_mul_f32_e32 v102, v71, v25
	v_mul_f32_e32 v105, v70, v25
	v_fma_f32 v58, v58, v40, -v82
	v_fmac_f32_e32 v93, v59, v40
	v_mul_f32_e32 v92, v63, v33
	v_mul_f32_e32 v95, v62, v33
	;; [unrolled: 1-line block ×3, first 2 shown]
	v_fma_f32 v59, v60, v42, -v91
	v_fmac_f32_e32 v94, v61, v42
	v_fma_f32 v61, v64, v34, -v96
	v_fma_f32 v64, v70, v24, -v102
	v_fmac_f32_e32 v105, v71, v24
	v_add_f32_e32 v70, v56, v58
	v_add_f32_e32 v71, v57, v93
	v_fma_f32 v60, v62, v32, -v92
	v_fmac_f32_e32 v95, v63, v32
	v_add_f32_e32 v70, v70, v59
	v_add_f32_e32 v71, v71, v94
	v_mul_f32_e32 v98, v67, v29
	v_mul_f32_e32 v99, v66, v29
	v_fmac_f32_e32 v97, v65, v34
	v_add_f32_e32 v70, v70, v60
	v_add_f32_e32 v71, v71, v95
	v_mul_f32_e32 v100, v69, v31
	v_mul_f32_e32 v101, v68, v31
	v_fma_f32 v62, v66, v28, -v98
	v_fmac_f32_e32 v99, v67, v28
	v_add_f32_e32 v70, v70, v61
	v_add_f32_e32 v71, v71, v97
	v_fma_f32 v63, v68, v30, -v100
	v_fmac_f32_e32 v101, v69, v30
	v_add_f32_e32 v70, v70, v62
	v_add_f32_e32 v71, v71, v99
	s_waitcnt lgkmcnt(1)
	v_mul_f32_e32 v107, v73, v27
	v_mul_f32_e32 v111, v72, v27
	v_add_f32_e32 v70, v70, v63
	v_add_f32_e32 v71, v71, v101
	s_waitcnt vmcnt(1)
	v_mul_f32_e32 v112, v75, v45
	v_mul_f32_e32 v113, v74, v45
	v_fma_f32 v65, v72, v26, -v107
	v_fmac_f32_e32 v111, v73, v26
	v_add_f32_e32 v70, v70, v64
	v_add_f32_e32 v71, v71, v105
	s_waitcnt lgkmcnt(0)
	v_mul_f32_e32 v114, v77, v47
	v_mul_f32_e32 v115, v76, v47
	s_waitcnt vmcnt(0)
	v_mul_f32_e32 v118, v81, v39
	v_fma_f32 v66, v74, v44, -v112
	v_fmac_f32_e32 v113, v75, v44
	v_add_f32_e32 v70, v70, v65
	v_add_f32_e32 v71, v71, v111
	v_mul_f32_e32 v116, v79, v37
	v_mul_f32_e32 v117, v78, v37
	v_fma_f32 v67, v76, v46, -v114
	v_fmac_f32_e32 v115, v77, v46
	v_fma_f32 v69, v80, v38, -v118
	v_add_f32_e32 v70, v70, v66
	v_add_f32_e32 v71, v71, v113
	v_mul_f32_e32 v119, v80, v39
	v_fma_f32 v68, v78, v36, -v116
	v_fmac_f32_e32 v117, v79, v36
	v_add_f32_e32 v72, v58, v69
	v_add_f32_e32 v70, v70, v67
	;; [unrolled: 1-line block ×3, first 2 shown]
	v_sub_f32_e32 v58, v58, v69
	v_fmac_f32_e32 v119, v81, v38
	v_add_f32_e32 v70, v70, v68
	v_add_f32_e32 v71, v71, v117
	v_mul_f32_e32 v74, 0xbeedf032, v58
	v_mul_f32_e32 v78, 0xbf52af12, v58
	;; [unrolled: 1-line block ×6, first 2 shown]
	v_add_f32_e32 v73, v93, v119
	v_add_f32_e32 v91, v70, v69
	;; [unrolled: 1-line block ×3, first 2 shown]
	v_sub_f32_e32 v69, v93, v119
	v_mov_b32_e32 v75, v74
	v_mov_b32_e32 v79, v78
	;; [unrolled: 1-line block ×6, first 2 shown]
	v_fmac_f32_e32 v75, 0x3f62ad3f, v73
	v_fma_f32 v74, v73, s10, -v74
	v_fmac_f32_e32 v79, 0x3f116cb1, v73
	v_fma_f32 v78, v73, s9, -v78
	;; [unrolled: 2-line block ×6, first 2 shown]
	v_mul_f32_e32 v70, 0xbeedf032, v69
	v_add_f32_e32 v75, v57, v75
	v_add_f32_e32 v74, v57, v74
	v_mul_f32_e32 v76, 0xbf52af12, v69
	v_add_f32_e32 v79, v57, v79
	v_add_f32_e32 v78, v57, v78
	;; [unrolled: 3-line block ×6, first 2 shown]
	v_add_f32_e32 v58, v59, v68
	v_sub_f32_e32 v59, v59, v68
	v_sub_f32_e32 v68, v94, v117
	v_fma_f32 v71, v72, s10, -v70
	v_fmac_f32_e32 v70, 0x3f62ad3f, v72
	v_fma_f32 v77, v72, s9, -v76
	v_fmac_f32_e32 v76, 0x3f116cb1, v72
	;; [unrolled: 2-line block ×6, first 2 shown]
	v_mul_f32_e32 v72, 0xbf52af12, v68
	v_add_f32_e32 v71, v56, v71
	v_fma_f32 v73, v58, s9, -v72
	v_add_f32_e32 v70, v56, v70
	v_add_f32_e32 v77, v56, v77
	;; [unrolled: 1-line block ×13, first 2 shown]
	v_mul_f32_e32 v73, 0xbf52af12, v59
	v_fmac_f32_e32 v72, 0x3f116cb1, v58
	v_mov_b32_e32 v94, v73
	v_add_f32_e32 v70, v72, v70
	v_fma_f32 v72, v69, s9, -v73
	v_mul_f32_e32 v73, 0xbf6f5d39, v68
	v_add_f32_e32 v72, v72, v74
	v_fma_f32 v74, v58, s11, -v73
	v_fmac_f32_e32 v94, 0x3f116cb1, v69
	v_add_f32_e32 v74, v74, v77
	v_mul_f32_e32 v77, 0xbf6f5d39, v59
	v_fmac_f32_e32 v73, 0xbeb58ec6, v58
	v_add_f32_e32 v75, v94, v75
	v_mov_b32_e32 v94, v77
	v_add_f32_e32 v73, v73, v76
	v_fma_f32 v76, v69, s11, -v77
	v_mul_f32_e32 v77, 0xbe750f2a, v68
	v_add_f32_e32 v76, v76, v78
	v_fma_f32 v78, v58, s17, -v77
	v_fmac_f32_e32 v94, 0xbeb58ec6, v69
	v_add_f32_e32 v78, v78, v81
	v_mul_f32_e32 v81, 0xbe750f2a, v59
	v_add_f32_e32 v79, v94, v79
	v_mov_b32_e32 v94, v81
	v_fmac_f32_e32 v77, 0xbf788fa5, v58
	v_fmac_f32_e32 v94, 0xbf788fa5, v69
	v_add_f32_e32 v77, v77, v80
	v_fma_f32 v80, v69, s17, -v81
	v_mul_f32_e32 v81, 0x3f29c268, v68
	v_add_f32_e32 v93, v94, v93
	v_add_f32_e32 v80, v80, v82
	v_fma_f32 v82, v58, s16, -v81
	v_mul_f32_e32 v94, 0x3f29c268, v59
	v_add_f32_e32 v82, v82, v98
	v_mov_b32_e32 v98, v94
	v_fmac_f32_e32 v81, 0xbf3f9e67, v58
	v_fmac_f32_e32 v98, 0xbf3f9e67, v69
	v_add_f32_e32 v81, v81, v96
	v_fma_f32 v94, v69, s16, -v94
	v_mul_f32_e32 v96, 0x3f7e222b, v68
	v_add_f32_e32 v98, v98, v102
	v_add_f32_e32 v94, v94, v100
	v_fma_f32 v100, v58, s8, -v96
	v_mul_f32_e32 v102, 0x3f7e222b, v59
	v_fmac_f32_e32 v96, 0x3df6dbef, v58
	v_mul_f32_e32 v68, 0x3eedf032, v68
	v_mul_f32_e32 v59, 0x3eedf032, v59
	v_add_f32_e32 v96, v96, v107
	v_fma_f32 v107, v58, s10, -v68
	v_fmac_f32_e32 v68, 0x3f62ad3f, v58
	v_fma_f32 v58, v69, s10, -v59
	v_add_f32_e32 v100, v100, v112
	v_mov_b32_e32 v112, v102
	v_fma_f32 v102, v69, s8, -v102
	v_add_f32_e32 v57, v58, v57
	v_add_f32_e32 v58, v60, v67
	v_sub_f32_e32 v60, v60, v67
	v_sub_f32_e32 v67, v95, v115
	v_add_f32_e32 v102, v102, v114
	v_mov_b32_e32 v114, v59
	v_add_f32_e32 v56, v68, v56
	v_mul_f32_e32 v68, 0xbf7e222b, v67
	v_fmac_f32_e32 v112, 0x3df6dbef, v69
	v_fmac_f32_e32 v114, 0x3f62ad3f, v69
	v_fma_f32 v69, v58, s8, -v68
	v_add_f32_e32 v59, v95, v115
	v_add_f32_e32 v69, v69, v71
	v_mul_f32_e32 v71, 0xbf7e222b, v60
	v_fmac_f32_e32 v68, 0x3df6dbef, v58
	v_mov_b32_e32 v95, v71
	v_add_f32_e32 v68, v68, v70
	v_fma_f32 v70, v59, s8, -v71
	v_mul_f32_e32 v71, 0xbe750f2a, v67
	v_add_f32_e32 v70, v70, v72
	v_fma_f32 v72, v58, s17, -v71
	v_fmac_f32_e32 v95, 0x3df6dbef, v59
	v_add_f32_e32 v72, v72, v74
	v_mul_f32_e32 v74, 0xbe750f2a, v60
	v_fmac_f32_e32 v71, 0xbf788fa5, v58
	v_add_f32_e32 v75, v95, v75
	v_mov_b32_e32 v95, v74
	v_add_f32_e32 v71, v71, v73
	v_fma_f32 v73, v59, s17, -v74
	v_mul_f32_e32 v74, 0x3f6f5d39, v67
	v_add_f32_e32 v73, v73, v76
	v_fma_f32 v76, v58, s11, -v74
	v_fmac_f32_e32 v95, 0xbf788fa5, v59
	v_add_f32_e32 v76, v76, v78
	v_mul_f32_e32 v78, 0x3f6f5d39, v60
	v_fmac_f32_e32 v74, 0xbeb58ec6, v58
	v_add_f32_e32 v79, v95, v79
	v_mov_b32_e32 v95, v78
	v_add_f32_e32 v74, v74, v77
	v_fma_f32 v77, v59, s11, -v78
	v_mul_f32_e32 v78, 0x3eedf032, v67
	v_add_f32_e32 v77, v77, v80
	v_fma_f32 v80, v58, s10, -v78
	v_fmac_f32_e32 v95, 0xbeb58ec6, v59
	v_add_f32_e32 v80, v80, v82
	v_mul_f32_e32 v82, 0x3eedf032, v60
	v_add_f32_e32 v93, v95, v93
	v_mov_b32_e32 v95, v82
	v_fmac_f32_e32 v78, 0x3f62ad3f, v58
	v_fmac_f32_e32 v95, 0x3f62ad3f, v59
	v_add_f32_e32 v78, v78, v81
	v_fma_f32 v81, v59, s10, -v82
	v_mul_f32_e32 v82, 0xbf52af12, v67
	v_add_f32_e32 v95, v95, v98
	v_add_f32_e32 v81, v81, v94
	v_fma_f32 v94, v58, s9, -v82
	v_mul_f32_e32 v98, 0xbf52af12, v60
	v_fmac_f32_e32 v82, 0x3f116cb1, v58
	v_mul_f32_e32 v67, 0xbf29c268, v67
	v_mul_f32_e32 v60, 0xbf29c268, v60
	v_add_f32_e32 v94, v94, v100
	v_mov_b32_e32 v100, v98
	v_add_f32_e32 v82, v82, v96
	v_fma_f32 v96, v59, s9, -v98
	v_fma_f32 v98, v58, s16, -v67
	v_fmac_f32_e32 v67, 0xbf3f9e67, v58
	v_fma_f32 v58, v59, s16, -v60
	v_add_f32_e32 v96, v96, v102
	v_mov_b32_e32 v102, v60
	v_add_f32_e32 v57, v58, v57
	v_add_f32_e32 v58, v61, v66
	v_sub_f32_e32 v60, v61, v66
	v_sub_f32_e32 v61, v97, v113
	v_mul_f32_e32 v66, 0xbf6f5d39, v61
	v_add_f32_e32 v56, v67, v56
	v_fma_f32 v67, v58, s11, -v66
	v_fmac_f32_e32 v100, 0x3f116cb1, v59
	v_fmac_f32_e32 v102, 0xbf3f9e67, v59
	v_add_f32_e32 v59, v97, v113
	v_add_f32_e32 v67, v67, v69
	v_mul_f32_e32 v69, 0xbf6f5d39, v60
	v_fmac_f32_e32 v66, 0xbeb58ec6, v58
	v_mov_b32_e32 v97, v69
	v_add_f32_e32 v66, v66, v68
	v_fma_f32 v68, v59, s11, -v69
	v_mul_f32_e32 v69, 0x3f29c268, v61
	v_add_f32_e32 v68, v68, v70
	v_fma_f32 v70, v58, s16, -v69
	v_fmac_f32_e32 v97, 0xbeb58ec6, v59
	v_add_f32_e32 v70, v70, v72
	v_mul_f32_e32 v72, 0x3f29c268, v60
	v_fmac_f32_e32 v69, 0xbf3f9e67, v58
	v_add_f32_e32 v75, v97, v75
	v_mov_b32_e32 v97, v72
	v_add_f32_e32 v69, v69, v71
	v_fma_f32 v71, v59, s16, -v72
	v_mul_f32_e32 v72, 0x3eedf032, v61
	v_add_f32_e32 v71, v71, v73
	v_fma_f32 v73, v58, s10, -v72
	v_fmac_f32_e32 v97, 0xbf3f9e67, v59
	v_add_f32_e32 v73, v73, v76
	v_mul_f32_e32 v76, 0x3eedf032, v60
	v_fmac_f32_e32 v72, 0x3f62ad3f, v58
	v_add_f32_e32 v79, v97, v79
	;; [unrolled: 11-line block ×3, first 2 shown]
	v_mov_b32_e32 v97, v80
	v_add_f32_e32 v76, v76, v78
	v_fma_f32 v78, v59, s8, -v80
	v_mul_f32_e32 v80, 0x3e750f2a, v61
	v_add_f32_e32 v78, v78, v81
	v_fma_f32 v81, v58, s17, -v80
	v_fmac_f32_e32 v97, 0x3df6dbef, v59
	v_add_f32_e32 v81, v81, v94
	v_mul_f32_e32 v94, 0x3e750f2a, v60
	v_fmac_f32_e32 v80, 0xbf788fa5, v58
	v_mul_f32_e32 v61, 0x3f52af12, v61
	v_add_f32_e32 v95, v97, v95
	v_mov_b32_e32 v97, v94
	v_add_f32_e32 v80, v80, v82
	v_fma_f32 v82, v59, s17, -v94
	v_fma_f32 v94, v58, s9, -v61
	v_mul_f32_e32 v60, 0x3f52af12, v60
	v_fmac_f32_e32 v61, 0x3f116cb1, v58
	v_add_f32_e32 v56, v61, v56
	v_fma_f32 v58, v59, s9, -v60
	v_sub_f32_e32 v61, v99, v111
	v_add_f32_e32 v82, v82, v96
	v_mov_b32_e32 v96, v60
	v_add_f32_e32 v57, v58, v57
	v_add_f32_e32 v58, v62, v65
	v_sub_f32_e32 v60, v62, v65
	v_mul_f32_e32 v62, 0xbf29c268, v61
	v_fma_f32 v65, v58, s16, -v62
	v_add_f32_e32 v107, v107, v118
	v_fmac_f32_e32 v97, 0xbf788fa5, v59
	v_fmac_f32_e32 v96, 0x3f116cb1, v59
	v_add_f32_e32 v59, v99, v111
	v_add_f32_e32 v65, v65, v67
	v_mul_f32_e32 v67, 0xbf29c268, v60
	v_fmac_f32_e32 v62, 0xbf3f9e67, v58
	v_add_f32_e32 v98, v98, v107
	v_add_f32_e32 v62, v62, v66
	v_fma_f32 v66, v59, s16, -v67
	v_add_f32_e32 v94, v94, v98
	v_mov_b32_e32 v98, v67
	v_add_f32_e32 v67, v66, v68
	v_mul_f32_e32 v66, 0x3f7e222b, v61
	v_fma_f32 v68, v58, s8, -v66
	v_add_f32_e32 v68, v68, v70
	v_mul_f32_e32 v70, 0x3f7e222b, v60
	v_fmac_f32_e32 v66, 0x3df6dbef, v58
	v_fmac_f32_e32 v98, 0xbf3f9e67, v59
	v_add_f32_e32 v69, v66, v69
	v_fma_f32 v66, v59, s8, -v70
	v_add_f32_e32 v75, v98, v75
	v_mov_b32_e32 v98, v70
	v_add_f32_e32 v70, v66, v71
	v_mul_f32_e32 v66, 0xbf52af12, v61
	v_fma_f32 v71, v58, s9, -v66
	v_add_f32_e32 v71, v71, v73
	v_mul_f32_e32 v73, 0xbf52af12, v60
	v_fmac_f32_e32 v66, 0x3f116cb1, v58
	v_fmac_f32_e32 v98, 0x3df6dbef, v59
	;; [unrolled: 11-line block ×4, first 2 shown]
	v_add_f32_e32 v80, v66, v80
	v_fma_f32 v66, v59, s10, -v81
	v_mul_f32_e32 v61, 0xbf6f5d39, v61
	v_add_f32_e32 v112, v112, v116
	v_add_f32_e32 v114, v114, v119
	;; [unrolled: 1-line block ×3, first 2 shown]
	v_mov_b32_e32 v98, v81
	v_add_f32_e32 v81, v66, v82
	v_fma_f32 v66, v58, s11, -v61
	v_mul_f32_e32 v60, 0xbf6f5d39, v60
	v_add_f32_e32 v100, v100, v112
	v_add_f32_e32 v102, v102, v114
	;; [unrolled: 1-line block ×3, first 2 shown]
	v_mov_b32_e32 v66, v60
	v_add_f32_e32 v97, v97, v100
	v_add_f32_e32 v96, v96, v102
	v_fmac_f32_e32 v66, 0xbeb58ec6, v59
	v_fmac_f32_e32 v61, 0xbeb58ec6, v58
	v_add_f32_e32 v100, v101, v105
	v_sub_f32_e32 v101, v101, v105
	v_fmac_f32_e32 v98, 0x3f62ad3f, v59
	v_add_f32_e32 v94, v66, v96
	v_add_f32_e32 v96, v61, v56
	v_fma_f32 v56, v59, s11, -v60
	v_add_f32_e32 v99, v63, v64
	v_sub_f32_e32 v102, v63, v64
	v_mul_f32_e32 v58, 0xbe750f2a, v101
	v_add_f32_e32 v97, v98, v97
	v_add_f32_e32 v98, v56, v57
	v_fma_f32 v56, v99, s17, -v58
	v_mul_f32_e32 v59, 0xbe750f2a, v102
	v_fmac_f32_e32 v58, 0xbf788fa5, v99
	v_add_f32_e32 v66, v58, v62
	v_fma_f32 v58, v100, s17, -v59
	v_mul_f32_e32 v60, 0x3eedf032, v101
	v_add_f32_e32 v67, v58, v67
	v_fma_f32 v58, v99, s10, -v60
	v_mul_f32_e32 v61, 0x3eedf032, v102
	v_fmac_f32_e32 v60, 0x3f62ad3f, v99
	v_add_f32_e32 v64, v60, v69
	v_fma_f32 v60, v100, s10, -v61
	v_mul_f32_e32 v62, 0xbf29c268, v101
	v_add_f32_e32 v56, v56, v65
	v_add_f32_e32 v65, v60, v70
	v_fma_f32 v60, v99, s16, -v62
	v_mul_f32_e32 v63, 0xbf29c268, v102
	v_fmac_f32_e32 v62, 0xbf3f9e67, v99
	v_add_f32_e32 v58, v58, v68
	v_add_f32_e32 v70, v62, v72
	v_fma_f32 v62, v100, s16, -v63
	v_mul_f32_e32 v68, 0x3f52af12, v101
	v_mov_b32_e32 v57, v59
	v_add_f32_e32 v60, v60, v71
	v_add_f32_e32 v71, v62, v73
	v_fma_f32 v62, v99, s9, -v68
	v_mul_f32_e32 v69, 0x3f52af12, v102
	v_fmac_f32_e32 v57, 0xbf788fa5, v100
	v_mov_b32_e32 v59, v61
	v_mov_b32_e32 v61, v63
	v_add_f32_e32 v62, v62, v74
	v_mov_b32_e32 v63, v69
	v_fma_f32 v69, v100, s9, -v69
	v_mul_f32_e32 v74, 0xbf6f5d39, v101
	v_add_f32_e32 v57, v57, v75
	v_fmac_f32_e32 v68, 0x3f116cb1, v99
	v_add_f32_e32 v69, v69, v77
	v_fma_f32 v72, v99, s11, -v74
	v_mul_f32_e32 v75, 0xbf6f5d39, v102
	v_fmac_f32_e32 v74, 0xbeb58ec6, v99
	v_mul_f32_e32 v77, 0x3f7e222b, v102
	v_fmac_f32_e32 v59, 0x3f62ad3f, v100
	v_add_f32_e32 v68, v68, v76
	v_add_f32_e32 v72, v72, v78
	v_mov_b32_e32 v73, v75
	v_add_f32_e32 v78, v74, v80
	v_fma_f32 v74, v100, s11, -v75
	v_mul_f32_e32 v76, 0x3f7e222b, v101
	v_mov_b32_e32 v75, v77
	v_add_f32_e32 v59, v59, v79
	v_fmac_f32_e32 v73, 0xbeb58ec6, v100
	v_add_f32_e32 v79, v74, v81
	v_fma_f32 v74, v99, s8, -v76
	v_fmac_f32_e32 v75, 0x3df6dbef, v100
	v_lshl_add_u32 v107, v225, 3, v226
	v_fmac_f32_e32 v61, 0xbf3f9e67, v100
	v_fmac_f32_e32 v63, 0x3f116cb1, v100
	v_add_f32_e32 v73, v73, v97
	v_add_f32_e32 v74, v74, v82
	;; [unrolled: 1-line block ×3, first 2 shown]
	v_fmac_f32_e32 v76, 0x3df6dbef, v99
	v_fma_f32 v77, v100, s8, -v77
	v_add_u32_e32 v80, 0xc00, v107
	v_add_f32_e32 v61, v61, v93
	v_add_f32_e32 v63, v63, v95
	;; [unrolled: 1-line block ×4, first 2 shown]
	ds_write_b64 v107, v[91:92]
	ds_write2_b64 v107, v[56:57], v[58:59] offset0:102 offset1:204
	v_add_u32_e32 v93, 0x800, v107
	ds_write2_b64 v80, v[72:73], v[74:75] offset0:126 offset1:228
	v_add_u32_e32 v94, 0x1400, v107
	v_add_u32_e32 v81, 0x1800, v107
	v_add_u32_e32 v80, 0x2000, v107
	ds_write2_b64 v93, v[60:61], v[62:63] offset0:50 offset1:152
	ds_write2_b64 v94, v[76:77], v[78:79] offset0:74 offset1:176
	;; [unrolled: 1-line block ×4, first 2 shown]
	s_waitcnt lgkmcnt(0)
	s_barrier
	s_and_saveexec_b64 s[8:9], s[0:1]
	s_cbranch_execz .LBB0_13
; %bb.12:
	v_mov_b32_e32 v82, s13
	v_add_co_u32_e32 v101, vcc, s12, v103
	v_addc_co_u32_e32 v82, vcc, 0, v82, vcc
	v_add_co_u32_e32 v95, vcc, 0x2970, v101
	v_addc_co_u32_e32 v96, vcc, 0, v82, vcc
	;; [unrolled: 2-line block ×3, first 2 shown]
	s_movk_i32 s10, 0x3000
	global_load_dwordx2 v[99:100], v[97:98], off offset:2416
	global_load_dwordx2 v[123:124], v[95:96], off offset:624
	;; [unrolled: 1-line block ×6, first 2 shown]
	v_add_co_u32_e32 v97, vcc, s10, v101
	v_addc_co_u32_e32 v98, vcc, 0, v82, vcc
	global_load_dwordx2 v[133:134], v[97:98], off offset:2688
	global_load_dwordx2 v[135:136], v[95:96], off offset:3744
	;; [unrolled: 1-line block ×4, first 2 shown]
	s_movk_i32 s10, 0x4000
	v_add_co_u32_e32 v95, vcc, s10, v101
	v_addc_co_u32_e32 v96, vcc, 0, v82, vcc
	global_load_dwordx2 v[141:142], v[95:96], off offset:464
	global_load_dwordx2 v[143:144], v[95:96], off offset:1088
	;; [unrolled: 1-line block ×6, first 2 shown]
	v_add_co_u32_e32 v95, vcc, 0x5000, v101
	v_addc_co_u32_e32 v96, vcc, 0, v82, vcc
	global_load_dwordx2 v[153:154], v[95:96], off offset:112
	ds_read_b64 v[97:98], v107
	v_add_u32_e32 v105, 0x400, v107
	v_add_u32_e32 v157, 0x1000, v107
	s_waitcnt vmcnt(16) lgkmcnt(0)
	v_mul_f32_e32 v82, v98, v100
	v_mul_f32_e32 v96, v97, v100
	v_fma_f32 v95, v97, v99, -v82
	v_fmac_f32_e32 v96, v98, v99
	ds_write_b64 v107, v[95:96]
	ds_read2_b64 v[95:98], v107 offset0:78 offset1:156
	ds_read2_b64 v[99:102], v105 offset0:106 offset1:184
	;; [unrolled: 1-line block ×5, first 2 shown]
	s_waitcnt vmcnt(15) lgkmcnt(4)
	v_mul_f32_e32 v82, v96, v124
	v_mul_f32_e32 v156, v95, v124
	s_waitcnt vmcnt(14)
	v_mul_f32_e32 v158, v98, v126
	v_mul_f32_e32 v124, v97, v126
	s_waitcnt vmcnt(13) lgkmcnt(3)
	v_mul_f32_e32 v159, v100, v128
	v_mul_f32_e32 v126, v99, v128
	s_waitcnt vmcnt(12)
	v_mul_f32_e32 v160, v102, v130
	v_mul_f32_e32 v128, v101, v130
	;; [unrolled: 6-line block ×3, first 2 shown]
	s_waitcnt lgkmcnt(1)
	v_mul_f32_e32 v163, v116, v134
	v_mul_f32_e32 v136, v115, v134
	s_waitcnt vmcnt(8)
	v_mul_f32_e32 v164, v118, v138
	v_mul_f32_e32 v134, v117, v138
	v_fma_f32 v155, v95, v123, -v82
	v_fmac_f32_e32 v156, v96, v123
	v_fma_f32 v123, v97, v125, -v158
	v_fmac_f32_e32 v124, v98, v125
	;; [unrolled: 2-line block ×8, first 2 shown]
	ds_write2_b64 v107, v[155:156], v[123:124] offset0:78 offset1:156
	ds_write2_b64 v105, v[125:126], v[127:128] offset0:106 offset1:184
	;; [unrolled: 1-line block ×4, first 2 shown]
	ds_read2_b64 v[95:98], v81 offset0:90 offset1:168
	s_waitcnt vmcnt(7) lgkmcnt(5)
	v_mul_f32_e32 v82, v120, v140
	v_fma_f32 v99, v119, v139, -v82
	v_mul_f32_e32 v100, v119, v140
	s_waitcnt vmcnt(6)
	v_mul_f32_e32 v82, v122, v142
	v_mul_f32_e32 v102, v121, v142
	v_fmac_f32_e32 v100, v120, v139
	v_fma_f32 v101, v121, v141, -v82
	v_fmac_f32_e32 v102, v122, v141
	ds_write2_b64 v94, v[99:100], v[101:102] offset0:62 offset1:140
	s_waitcnt vmcnt(5) lgkmcnt(1)
	v_mul_f32_e32 v82, v96, v144
	v_mul_f32_e32 v100, v95, v144
	v_add_u32_e32 v105, 0x1c00, v107
	v_fma_f32 v99, v95, v143, -v82
	v_fmac_f32_e32 v100, v96, v143
	s_waitcnt vmcnt(4)
	v_mul_f32_e32 v82, v98, v146
	ds_read2_b64 v[93:96], v105 offset0:118 offset1:196
	v_mul_f32_e32 v102, v97, v146
	v_fma_f32 v101, v97, v145, -v82
	v_fmac_f32_e32 v102, v98, v145
	ds_write2_b64 v81, v[99:100], v[101:102] offset0:90 offset1:168
	ds_read2_b64 v[97:100], v80 offset0:146 offset1:224
	s_waitcnt vmcnt(3) lgkmcnt(2)
	v_mul_f32_e32 v81, v94, v148
	v_mul_f32_e32 v102, v93, v148
	v_fma_f32 v101, v93, v147, -v81
	v_fmac_f32_e32 v102, v94, v147
	s_waitcnt vmcnt(2)
	v_mul_f32_e32 v81, v96, v150
	v_mul_f32_e32 v94, v95, v150
	v_fma_f32 v93, v95, v149, -v81
	v_fmac_f32_e32 v94, v96, v149
	s_waitcnt vmcnt(1) lgkmcnt(0)
	v_mul_f32_e32 v81, v98, v152
	ds_write2_b64 v105, v[101:102], v[93:94] offset0:118 offset1:196
	v_fma_f32 v93, v97, v151, -v81
	v_mul_f32_e32 v94, v97, v152
	s_waitcnt vmcnt(0)
	v_mul_f32_e32 v81, v100, v154
	v_mul_f32_e32 v96, v99, v154
	v_fmac_f32_e32 v94, v98, v151
	v_fma_f32 v95, v99, v153, -v81
	v_fmac_f32_e32 v96, v100, v153
	ds_write2_b64 v80, v[93:94], v[95:96] offset0:146 offset1:224
.LBB0_13:
	s_or_b64 exec, exec, s[8:9]
	s_waitcnt lgkmcnt(0)
	s_barrier
	s_and_saveexec_b64 s[8:9], s[0:1]
	s_cbranch_execz .LBB0_15
; %bb.14:
	v_add_u32_e32 v48, 0x400, v107
	ds_read_b64 v[91:92], v107
	ds_read2_b64 v[56:59], v107 offset0:78 offset1:156
	ds_read2_b64 v[60:63], v48 offset0:106 offset1:184
	v_add_u32_e32 v48, 0x800, v107
	ds_read2_b64 v[72:75], v48 offset0:134 offset1:212
	v_add_u32_e32 v48, 0x1000, v107
	;; [unrolled: 2-line block ×5, first 2 shown]
	v_add_u32_e32 v52, 0x2000, v107
	ds_read2_b64 v[48:51], v48 offset0:118 offset1:196
	ds_read2_b64 v[52:55], v52 offset0:146 offset1:224
.LBB0_15:
	s_or_b64 exec, exec, s[8:9]
	s_waitcnt lgkmcnt(0)
	v_sub_f32_e32 v170, v57, v55
	v_add_f32_e32 v111, v54, v56
	v_add_f32_e32 v178, v55, v57
	s_mov_b32 s10, 0x3f6eb680
	v_mul_f32_e32 v227, 0xbeb8f4ab, v170
	v_sub_f32_e32 v182, v59, v53
	v_mul_f32_e32 v237, 0x3f6eb680, v178
	v_fma_f32 v80, v111, s10, -v227
	s_mov_b32 s11, 0x3f3d2fb0
	v_add_f32_e32 v113, v52, v58
	v_add_f32_e32 v192, v53, v59
	v_mul_f32_e32 v125, 0xbf2c7751, v182
	v_sub_f32_e32 v112, v56, v54
	v_add_f32_e32 v80, v91, v80
	v_mov_b32_e32 v81, v237
	v_mul_f32_e32 v128, 0x3f3d2fb0, v192
	v_fma_f32 v100, v113, s11, -v125
	v_fmac_f32_e32 v81, 0xbeb8f4ab, v112
	v_mul_f32_e32 v124, 0xbf2c7751, v170
	v_sub_f32_e32 v114, v58, v52
	v_add_f32_e32 v80, v100, v80
	v_mov_b32_e32 v100, v128
	v_add_f32_e32 v81, v92, v81
	v_mul_f32_e32 v127, 0x3f3d2fb0, v178
	v_fma_f32 v82, v111, s11, -v124
	s_mov_b32 s17, 0x3dbcf732
	v_fmac_f32_e32 v100, 0xbf2c7751, v114
	v_mul_f32_e32 v131, 0xbf7ee86f, v182
	v_add_f32_e32 v82, v91, v82
	v_mov_b32_e32 v93, v127
	v_add_f32_e32 v81, v100, v81
	v_mul_f32_e32 v135, 0x3dbcf732, v192
	v_fma_f32 v100, v113, s17, -v131
	v_fmac_f32_e32 v93, 0xbf2c7751, v112
	s_mov_b32 s16, 0x3ee437d1
	v_mul_f32_e32 v130, 0xbf65296c, v170
	v_add_f32_e32 v82, v100, v82
	v_mov_b32_e32 v100, v135
	v_add_f32_e32 v93, v92, v93
	v_mul_f32_e32 v230, 0x3ee437d1, v178
	v_fma_f32 v94, v111, s16, -v130
	v_fmac_f32_e32 v100, 0xbf7ee86f, v114
	v_mul_f32_e32 v140, 0xbf4c4adb, v182
	v_add_f32_e32 v94, v91, v94
	v_mov_b32_e32 v95, v230
	v_add_f32_e32 v93, v100, v93
	v_mul_f32_e32 v144, 0xbf1a4643, v192
	v_fma_f32 v100, v113, s20, -v140
	v_fmac_f32_e32 v95, 0xbf65296c, v112
	;; [unrolled: 7-line block ×6, first 2 shown]
	v_add_f32_e32 v98, v100, v98
	v_mov_b32_e32 v100, v181
	v_sub_f32_e32 v193, v61, v51
	v_add_f32_e32 v99, v92, v99
	v_fmac_f32_e32 v100, 0x3f06c442, v114
	v_add_f32_e32 v115, v50, v60
	v_add_f32_e32 v201, v51, v61
	v_mul_f32_e32 v132, 0xbf65296c, v193
	v_add_f32_e32 v99, v100, v99
	v_mul_f32_e32 v228, 0x3ee437d1, v201
	v_fma_f32 v100, v115, s16, -v132
	v_sub_f32_e32 v116, v60, v50
	v_add_f32_e32 v80, v100, v80
	v_mov_b32_e32 v100, v228
	v_fmac_f32_e32 v100, 0xbf65296c, v116
	v_mul_f32_e32 v141, 0xbf4c4adb, v193
	v_add_f32_e32 v81, v100, v81
	v_mul_f32_e32 v145, 0xbf1a4643, v201
	v_fma_f32 v100, v115, s20, -v141
	v_add_f32_e32 v82, v100, v82
	v_mov_b32_e32 v100, v145
	v_fmac_f32_e32 v100, 0xbf4c4adb, v116
	v_mul_f32_e32 v149, 0x3e3c28d5, v193
	v_add_f32_e32 v93, v100, v93
	v_mul_f32_e32 v153, 0xbf7ba420, v201
	v_fma_f32 v100, v115, s19, -v149
	v_add_f32_e32 v94, v100, v94
	v_mov_b32_e32 v100, v153
	v_fmac_f32_e32 v100, 0x3e3c28d5, v116
	v_mul_f32_e32 v159, 0x3f763a35, v193
	v_add_f32_e32 v95, v100, v95
	v_mul_f32_e32 v163, 0xbe8c1d8e, v201
	v_fma_f32 v100, v115, s18, -v159
	v_add_f32_e32 v96, v100, v96
	v_mov_b32_e32 v100, v163
	v_fmac_f32_e32 v100, 0x3f763a35, v116
	v_mul_f32_e32 v175, 0x3f2c7751, v193
	v_add_f32_e32 v97, v100, v97
	v_mul_f32_e32 v190, 0x3f3d2fb0, v201
	v_fma_f32 v100, v115, s11, -v175
	v_add_f32_e32 v98, v100, v98
	v_mov_b32_e32 v100, v190
	v_sub_f32_e32 v202, v63, v49
	v_fmac_f32_e32 v100, 0x3f2c7751, v116
	v_add_f32_e32 v117, v48, v62
	v_add_f32_e32 v207, v49, v63
	v_mul_f32_e32 v138, 0xbf7ee86f, v202
	v_add_f32_e32 v99, v100, v99
	v_mul_f32_e32 v143, 0x3dbcf732, v207
	v_fma_f32 v100, v117, s17, -v138
	v_sub_f32_e32 v118, v62, v48
	v_add_f32_e32 v80, v100, v80
	v_mov_b32_e32 v100, v143
	v_fmac_f32_e32 v100, 0xbf7ee86f, v118
	v_mul_f32_e32 v148, 0xbe3c28d5, v202
	v_add_f32_e32 v81, v100, v81
	v_mul_f32_e32 v152, 0xbf7ba420, v207
	v_fma_f32 v100, v117, s19, -v148
	v_add_f32_e32 v82, v100, v82
	v_mov_b32_e32 v100, v152
	v_fmac_f32_e32 v100, 0xbe3c28d5, v118
	v_mul_f32_e32 v158, 0x3f763a35, v202
	v_add_f32_e32 v93, v100, v93
	v_mul_f32_e32 v162, 0xbe8c1d8e, v207
	v_fma_f32 v100, v117, s18, -v158
	v_add_f32_e32 v94, v100, v94
	v_mov_b32_e32 v100, v162
	v_fmac_f32_e32 v100, 0x3f763a35, v118
	v_mul_f32_e32 v168, 0x3eb8f4ab, v202
	v_add_f32_e32 v95, v100, v95
	v_mul_f32_e32 v174, 0x3f6eb680, v207
	v_fma_f32 v100, v117, s10, -v168
	v_add_f32_e32 v96, v100, v96
	v_mov_b32_e32 v100, v174
	v_fmac_f32_e32 v100, 0x3eb8f4ab, v118
	v_mul_f32_e32 v187, 0xbf65296c, v202
	v_add_f32_e32 v97, v100, v97
	v_mul_f32_e32 v198, 0x3ee437d1, v207
	v_fma_f32 v100, v117, s16, -v187
	v_add_f32_e32 v98, v100, v98
	v_mov_b32_e32 v100, v198
	v_sub_f32_e32 v209, v73, v67
	;; [unrolled: 39-line block ×5, first 2 shown]
	v_fmac_f32_e32 v95, 0xbeb8f4ab, v133
	v_add_f32_e32 v137, v68, v78
	v_add_f32_e32 v222, v69, v79
	v_mul_f32_e32 v176, 0xbe3c28d5, v221
	v_add_f32_e32 v223, v95, v99
	v_mul_f32_e32 v183, 0xbf7ba420, v222
	v_fma_f32 v95, v137, s19, -v176
	v_sub_f32_e32 v142, v78, v68
	v_add_f32_e32 v80, v95, v80
	v_mov_b32_e32 v95, v183
	v_fmac_f32_e32 v95, 0xbe3c28d5, v142
	v_mul_f32_e32 v188, 0x3eb8f4ab, v221
	v_add_f32_e32 v81, v95, v81
	v_mul_f32_e32 v194, 0x3f6eb680, v222
	v_fma_f32 v95, v137, s10, -v188
	v_add_f32_e32 v95, v95, v82
	v_mov_b32_e32 v82, v194
	v_fmac_f32_e32 v82, 0x3eb8f4ab, v142
	v_mul_f32_e32 v199, 0xbf06c442, v221
	v_add_f32_e32 v96, v82, v93
	v_mul_f32_e32 v203, 0xbf59a7d5, v222
	v_fma_f32 v82, v137, s21, -v199
	;; [unrolled: 7-line block ×4, first 2 shown]
	v_add_f32_e32 v93, v82, v105
	v_mov_b32_e32 v82, v219
	v_fmac_f32_e32 v82, 0xbf4c4adb, v142
	v_add_f32_e32 v94, v82, v223
	s_barrier
	s_and_saveexec_b64 s[8:9], s[0:1]
	s_cbranch_execz .LBB0_17
; %bb.16:
	buffer_store_dword v109, off, s[24:27], 0 offset:4 ; 4-byte Folded Spill
	v_mul_f32_e32 v109, 0xbf7ba420, v178
	v_add_f32_e32 v57, v57, v92
	v_mov_b32_e32 v101, v109
	v_mul_f32_e32 v254, 0x3f6eb680, v192
	v_add_f32_e32 v57, v59, v57
	v_fmac_f32_e32 v101, 0x3e3c28d5, v112
	v_mov_b32_e32 v102, v254
	v_add_f32_e32 v57, v61, v57
	v_add_f32_e32 v101, v92, v101
	v_fmac_f32_e32 v102, 0xbeb8f4ab, v114
	v_mul_f32_e32 v253, 0xbf59a7d5, v201
	v_add_f32_e32 v57, v63, v57
	v_add_f32_e32 v101, v102, v101
	v_mov_b32_e32 v102, v253
	v_add_f32_e32 v57, v73, v57
	v_fmac_f32_e32 v102, 0x3f06c442, v116
	v_mul_f32_e32 v244, 0x3f3d2fb0, v207
	v_add_f32_e32 v57, v75, v57
	v_add_f32_e32 v101, v102, v101
	v_mov_b32_e32 v102, v244
	;; [unrolled: 6-line block ×5, first 2 shown]
	v_add_f32_e32 v49, v49, v57
	v_fmac_f32_e32 v102, 0x3f763a35, v133
	v_mul_f32_e32 v236, 0x3dbcf732, v222
	v_add_f32_e32 v49, v51, v49
	v_add_f32_e32 v51, v56, v91
	;; [unrolled: 1-line block ×3, first 2 shown]
	v_mov_b32_e32 v102, v236
	v_add_f32_e32 v51, v58, v51
	v_fmac_f32_e32 v102, 0xbf7ee86f, v142
	v_add_f32_e32 v51, v60, v51
	v_add_f32_e32 v102, v102, v101
	v_mul_f32_e32 v101, 0xbe3c28d5, v170
	v_add_f32_e32 v51, v62, v51
	buffer_store_dword v101, off, s[24:27], 0 offset:20 ; 4-byte Folded Spill
	v_fmac_f32_e32 v101, 0xbf7ba420, v111
	v_mul_f32_e32 v223, 0x3eb8f4ab, v182
	v_add_f32_e32 v51, v72, v51
	v_add_f32_e32 v101, v91, v101
	buffer_store_dword v223, off, s[24:27], 0 offset:24 ; 4-byte Folded Spill
	v_fmac_f32_e32 v223, 0x3f6eb680, v113
	v_add_f32_e32 v51, v74, v51
	v_add_f32_e32 v101, v223, v101
	v_mul_f32_e32 v223, 0xbf06c442, v193
	v_add_f32_e32 v51, v76, v51
	buffer_store_dword v223, off, s[24:27], 0 offset:28 ; 4-byte Folded Spill
	v_fmac_f32_e32 v223, 0xbf59a7d5, v115
	v_add_f32_e32 v51, v78, v51
	v_add_f32_e32 v101, v223, v101
	v_mul_f32_e32 v223, 0x3f2c7751, v202
	;; [unrolled: 6-line block ×4, first 2 shown]
	v_add_f32_e32 v48, v48, v51
	v_fmac_f32_e32 v109, 0xbe3c28d5, v112
	buffer_store_dword v223, off, s[24:27], 0 offset:40 ; 4-byte Folded Spill
	v_fmac_f32_e32 v223, 0x3ee437d1, v123
	v_add_f32_e32 v48, v50, v48
	v_add_f32_e32 v50, v92, v109
	v_fmac_f32_e32 v254, 0x3eb8f4ab, v114
	v_add_f32_e32 v101, v223, v101
	v_mul_f32_e32 v223, 0xbf763a35, v218
	v_add_f32_e32 v50, v254, v50
	v_fmac_f32_e32 v253, 0xbf06c442, v116
	v_mul_f32_e32 v105, 0xbe8c1d8e, v111
	buffer_store_dword v223, off, s[24:27], 0 offset:44 ; 4-byte Folded Spill
	v_fmac_f32_e32 v223, 0xbe8c1d8e, v129
	v_add_f32_e32 v50, v253, v50
	v_fmac_f32_e32 v244, 0x3f2c7751, v118
	v_mul_f32_e32 v136, 0xbf59a7d5, v113
	v_add_f32_e32 v101, v223, v101
	v_mul_f32_e32 v223, 0x3f7ee86f, v221
	v_add_f32_e32 v157, v105, v157
	v_add_f32_e32 v50, v244, v50
	v_fmac_f32_e32 v245, 0xbf4c4adb, v122
	v_mul_f32_e32 v134, 0xbf7ee86f, v112
	v_mul_f32_e32 v235, 0x3f3d2fb0, v115
	buffer_store_dword v223, off, s[24:27], 0 offset:48 ; 4-byte Folded Spill
	v_fmac_f32_e32 v223, 0x3dbcf732, v137
	v_add_f32_e32 v166, v136, v166
	v_add_f32_e32 v157, v91, v157
	;; [unrolled: 1-line block ×3, first 2 shown]
	v_fmac_f32_e32 v243, 0x3f65296c, v126
	v_add_f32_e32 v101, v223, v101
	v_add_f32_e32 v157, v166, v157
	;; [unrolled: 1-line block ×3, first 2 shown]
	v_mul_f32_e32 v105, 0x3ee437d1, v117
	v_sub_f32_e32 v146, v146, v134
	v_mul_f32_e32 v134, 0xbe3c28d5, v114
	v_add_f32_e32 v50, v243, v50
	v_fmac_f32_e32 v255, 0xbf763a35, v133
	buffer_store_dword v101, off, s[24:27], 0 offset:12 ; 4-byte Folded Spill
	s_nop 0
	buffer_store_dword v102, off, s[24:27], 0 offset:16 ; 4-byte Folded Spill
	v_add_f32_e32 v157, v175, v157
	v_add_f32_e32 v175, v105, v187
	v_sub_f32_e32 v154, v154, v134
	v_add_f32_e32 v146, v92, v146
	v_mul_f32_e32 v105, 0x3f763a35, v116
	v_add_f32_e32 v50, v255, v50
	v_fmac_f32_e32 v236, 0x3f7ee86f, v142
	buffer_store_dword v125, off, s[24:27], 0 offset:56 ; 4-byte Folded Spill
	v_add_f32_e32 v146, v154, v146
	v_sub_f32_e32 v163, v163, v105
	v_mul_f32_e32 v105, 0x3eb8f4ab, v118
	v_add_f32_e32 v51, v236, v50
	buffer_load_dword v50, off, s[24:27], 0 offset:20 ; 4-byte Folded Reload
	v_add_f32_e32 v146, v163, v146
	v_sub_f32_e32 v163, v174, v105
	buffer_load_dword v105, off, s[24:27], 0 offset:56 ; 4-byte Folded Reload
	v_add_f32_e32 v48, v52, v48
	buffer_load_dword v52, off, s[24:27], 0 offset:24 ; 4-byte Folded Reload
	v_mov_b32_e32 v234, v226
	v_mul_f32_e32 v226, 0xbf59a7d5, v178
	v_mov_b32_e32 v223, v226
	v_mul_f32_e32 v238, 0x3ee437d1, v192
	v_fmac_f32_e32 v223, 0x3f06c442, v112
	v_mov_b32_e32 v224, v238
	v_add_f32_e32 v223, v92, v223
	v_fmac_f32_e32 v224, 0xbf65296c, v114
	v_mov_b32_e32 v233, v225
	v_mul_f32_e32 v225, 0x3dbcf732, v201
	v_add_f32_e32 v223, v224, v223
	v_mov_b32_e32 v224, v225
	v_fmac_f32_e32 v224, 0x3f7ee86f, v116
	v_mul_f32_e32 v248, 0xbf1a4643, v207
	v_add_f32_e32 v223, v224, v223
	v_mov_b32_e32 v224, v248
	v_fmac_f32_e32 v224, 0xbf4c4adb, v118
	;; [unrolled: 4-line block ×3, first 2 shown]
	buffer_store_dword v108, off, s[24:27], 0 ; 4-byte Folded Spill
	v_mul_f32_e32 v108, 0xbf7ba420, v217
	v_add_f32_e32 v223, v224, v223
	v_mov_b32_e32 v224, v108
	v_fmac_f32_e32 v224, 0x3e3c28d5, v126
	v_mul_f32_e32 v239, 0x3f3d2fb0, v220
	v_add_f32_e32 v223, v224, v223
	v_mov_b32_e32 v224, v239
	v_fmac_f32_e32 v224, 0xbf2c7751, v133
	;; [unrolled: 4-line block ×3, first 2 shown]
	v_mul_f32_e32 v101, 0xbf06c442, v170
	v_add_f32_e32 v224, v224, v223
	v_mov_b32_e32 v223, v101
	v_mul_f32_e32 v250, 0x3f65296c, v182
	v_fmac_f32_e32 v223, 0xbf59a7d5, v111
	v_mov_b32_e32 v240, v250
	v_add_f32_e32 v223, v91, v223
	v_fmac_f32_e32 v240, 0x3ee437d1, v113
	buffer_store_dword v110, off, s[24:27], 0 offset:8 ; 4-byte Folded Spill
	v_mul_f32_e32 v110, 0xbf7ee86f, v193
	v_add_f32_e32 v223, v240, v223
	v_mov_b32_e32 v240, v110
	v_fmac_f32_e32 v240, 0x3dbcf732, v115
	buffer_store_dword v132, off, s[24:27], 0 offset:52 ; 4-byte Folded Spill
	v_mul_f32_e32 v132, 0x3f4c4adb, v202
	v_add_f32_e32 v223, v240, v223
	v_mov_b32_e32 v240, v132
	v_fmac_f32_e32 v240, 0xbf1a4643, v117
	v_mov_b32_e32 v102, v131
	v_mul_f32_e32 v131, 0xbeb8f4ab, v209
	v_add_f32_e32 v223, v240, v223
	v_mov_b32_e32 v240, v131
	v_fmac_f32_e32 v240, 0x3f6eb680, v119
	v_mul_f32_e32 v231, 0xbe3c28d5, v214
	v_add_f32_e32 v223, v240, v223
	v_mov_b32_e32 v240, v231
	v_fmac_f32_e32 v240, 0xbf7ba420, v123
	;; [unrolled: 4-line block ×4, first 2 shown]
	v_mul_f32_e32 v178, 0xbf1a4643, v178
	v_add_f32_e32 v223, v240, v223
	v_mov_b32_e32 v240, v178
	v_mul_f32_e32 v251, 0xbe8c1d8e, v192
	v_fmac_f32_e32 v240, 0x3f4c4adb, v112
	s_waitcnt vmcnt(5)
	v_fma_f32 v50, v111, s19, -v50
	v_add_f32_e32 v50, v91, v50
	v_mov_b32_e32 v192, v251
	v_add_f32_e32 v240, v92, v240
	v_fmac_f32_e32 v192, 0xbf763a35, v114
	s_waitcnt vmcnt(3)
	v_fma_f32 v52, v113, s10, -v52
	v_add_f32_e32 v50, v52, v50
	buffer_load_dword v52, off, s[24:27], 0 offset:28 ; 4-byte Folded Reload
	v_mul_f32_e32 v201, 0x3f6eb680, v201
	v_add_f32_e32 v192, v192, v240
	v_mov_b32_e32 v240, v201
	v_fmac_f32_e32 v240, 0x3eb8f4ab, v116
	v_mul_f32_e32 v207, 0xbf59a7d5, v207
	v_add_f32_e32 v192, v240, v192
	v_mov_b32_e32 v240, v207
	v_fmac_f32_e32 v240, 0x3f06c442, v118
	;; [unrolled: 4-line block ×5, first 2 shown]
	v_add_f32_e32 v192, v240, v192
	v_mul_f32_e32 v240, 0x3ee437d1, v222
	v_mov_b32_e32 v222, v240
	v_fmac_f32_e32 v222, 0xbf65296c, v142
	v_add_f32_e32 v222, v222, v192
	v_mul_f32_e32 v192, 0xbf4c4adb, v170
	v_mov_b32_e32 v170, v192
	v_mul_f32_e32 v103, 0x3f763a35, v182
	v_fmac_f32_e32 v170, 0xbf1a4643, v111
	v_mov_b32_e32 v182, v103
	v_add_f32_e32 v170, v91, v170
	v_fmac_f32_e32 v182, 0xbe8c1d8e, v113
	v_add_f32_e32 v170, v182, v170
	v_mul_f32_e32 v182, 0xbeb8f4ab, v193
	v_mov_b32_e32 v193, v182
	v_fmac_f32_e32 v193, 0x3f6eb680, v115
	v_add_f32_e32 v170, v193, v170
	v_mul_f32_e32 v193, 0xbf06c442, v202
	v_mov_b32_e32 v202, v193
	;; [unrolled: 4-line block ×5, first 2 shown]
	v_fmac_f32_e32 v218, 0xbf7ba420, v129
	v_add_f32_e32 v170, v218, v170
	v_mul_f32_e32 v218, 0x3f65296c, v221
	v_mul_f32_e32 v232, 0xbf763a35, v112
	v_mov_b32_e32 v221, v218
	v_mul_f32_e32 v242, 0x3f06c442, v114
	v_fmac_f32_e32 v221, 0x3ee437d1, v137
	v_sub_f32_e32 v169, v169, v232
	v_mul_f32_e32 v252, 0x3f2c7751, v116
	v_add_f32_e32 v221, v221, v170
	v_sub_f32_e32 v170, v181, v242
	v_add_f32_e32 v169, v92, v169
	v_mul_f32_e32 v82, 0xbf65296c, v118
	v_add_f32_e32 v169, v170, v169
	v_sub_f32_e32 v190, v190, v252
	v_mul_f32_e32 v170, 0xbe3c28d5, v122
	v_add_f32_e32 v169, v190, v169
	v_sub_f32_e32 v82, v198, v82
	v_add_f32_e32 v82, v82, v169
	v_sub_f32_e32 v169, v206, v170
	v_add_f32_e32 v82, v169, v82
	v_mul_f32_e32 v169, 0x3f7ee86f, v126
	v_sub_f32_e32 v169, v212, v169
	v_add_f32_e32 v82, v169, v82
	v_mul_f32_e32 v169, 0xbeb8f4ab, v133
	v_sub_f32_e32 v169, v216, v169
	v_mul_f32_e32 v232, 0xbf65296c, v122
	v_mul_f32_e32 v181, 0xbf7ba420, v119
	s_waitcnt vmcnt(0)
	v_fma_f32 v52, v115, s21, -v52
	v_add_f32_e32 v50, v52, v50
	buffer_load_dword v52, off, s[24:27], 0 offset:32 ; 4-byte Folded Reload
	v_add_f32_e32 v82, v169, v82
	v_mul_f32_e32 v169, 0xbf4c4adb, v142
	v_sub_f32_e32 v169, v219, v169
	v_mul_f32_e32 v219, 0xbf06c442, v126
	v_add_f32_e32 v157, v175, v157
	v_add_f32_e32 v175, v181, v197
	;; [unrolled: 1-line block ×3, first 2 shown]
	v_sub_f32_e32 v163, v186, v232
	v_add_f32_e32 v157, v175, v157
	v_mul_f32_e32 v175, 0x3f4c4adb, v133
	v_add_f32_e32 v146, v163, v146
	v_sub_f32_e32 v163, v196, v219
	v_mul_f32_e32 v154, 0x3f2c7751, v142
	v_add_f32_e32 v146, v163, v146
	v_sub_f32_e32 v163, v204, v175
	v_add_f32_e32 v146, v163, v146
	v_sub_f32_e32 v154, v211, v154
	v_add_f32_e32 v175, v154, v146
	v_mul_f32_e32 v146, 0x3dbcf732, v111
	v_add_f32_e32 v139, v146, v139
	v_mul_f32_e32 v146, 0xbf7ba420, v113
	v_add_f32_e32 v139, v91, v139
	v_add_f32_e32 v146, v146, v150
	;; [unrolled: 1-line block ×3, first 2 shown]
	v_mul_f32_e32 v146, 0xbe8c1d8e, v115
	v_add_f32_e32 v146, v146, v159
	v_add_f32_e32 v139, v146, v139
	v_mul_f32_e32 v146, 0x3f6eb680, v117
	v_mul_f32_e32 v120, 0x3ee437d1, v119
	v_add_f32_e32 v146, v146, v168
	v_mul_f32_e32 v216, 0xbf59a7d5, v123
	v_add_f32_e32 v139, v146, v139
	v_add_f32_e32 v120, v120, v180
	v_mul_f32_e32 v181, 0xbf1a4643, v129
	v_add_f32_e32 v120, v120, v139
	v_add_f32_e32 v139, v216, v191
	v_mov_b32_e32 v134, v130
	v_mul_f32_e32 v130, 0x3f3d2fb0, v137
	v_add_f32_e32 v120, v139, v120
	v_add_f32_e32 v139, v181, v200
	;; [unrolled: 1-line block ×5, first 2 shown]
	v_mul_f32_e32 v120, 0xbf65296c, v112
	v_sub_f32_e32 v120, v230, v120
	v_mul_f32_e32 v130, 0xbf4c4adb, v114
	v_add_f32_e32 v120, v92, v120
	v_sub_f32_e32 v130, v144, v130
	v_add_f32_e32 v120, v130, v120
	v_mul_f32_e32 v130, 0x3e3c28d5, v116
	v_mul_f32_e32 v170, 0x3dbcf732, v123
	v_sub_f32_e32 v130, v153, v130
	v_add_f32_e32 v170, v170, v205
	v_mul_f32_e32 v197, 0x3f6eb680, v129
	v_add_f32_e32 v120, v130, v120
	v_mul_f32_e32 v130, 0x3f763a35, v118
	v_mul_f32_e32 v121, 0x3f2c7751, v122
	v_add_f32_e32 v157, v170, v157
	v_add_f32_e32 v170, v197, v210
	v_sub_f32_e32 v130, v162, v130
	v_mul_f32_e32 v212, 0xbeb8f4ab, v126
	v_add_f32_e32 v157, v170, v157
	v_mul_f32_e32 v170, 0xbf1a4643, v137
	v_add_f32_e32 v120, v130, v120
	v_sub_f32_e32 v121, v173, v121
	v_mov_b32_e32 v136, v128
	v_mul_f32_e32 v128, 0xbf7ee86f, v133
	v_add_f32_e32 v210, v170, v215
	v_add_f32_e32 v120, v121, v120
	v_sub_f32_e32 v121, v185, v212
	v_add_f32_e32 v170, v169, v82
	v_add_f32_e32 v169, v210, v157
	v_mul_f32_e32 v210, 0xbf06c442, v142
	v_add_f32_e32 v120, v121, v120
	v_sub_f32_e32 v121, v195, v128
	v_add_f32_e32 v120, v121, v120
	v_sub_f32_e32 v121, v203, v210
	v_add_f32_e32 v150, v121, v120
	v_mul_f32_e32 v120, 0x3ee437d1, v111
	s_waitcnt vmcnt(0)
	v_fma_f32 v52, v117, s11, -v52
	v_add_f32_e32 v50, v52, v50
	buffer_load_dword v52, off, s[24:27], 0 offset:36 ; 4-byte Folded Reload
	v_add_f32_e32 v120, v120, v134
	v_mul_f32_e32 v121, 0xbf1a4643, v113
	v_add_f32_e32 v120, v91, v120
	v_add_f32_e32 v121, v121, v140
	;; [unrolled: 1-line block ×3, first 2 shown]
	v_mul_f32_e32 v121, 0xbf7ba420, v115
	v_add_f32_e32 v121, v121, v149
	v_add_f32_e32 v120, v121, v120
	v_mul_f32_e32 v121, 0xbe8c1d8e, v117
	v_add_f32_e32 v121, v121, v158
	v_add_f32_e32 v120, v121, v120
	v_mul_f32_e32 v121, 0x3f3d2fb0, v119
	v_mul_f32_e32 v206, 0x3f6eb680, v123
	v_add_f32_e32 v121, v121, v167
	v_mul_f32_e32 v187, 0x3dbcf732, v129
	v_add_f32_e32 v120, v121, v120
	v_add_f32_e32 v121, v206, v179
	v_mul_f32_e32 v157, 0xbf59a7d5, v137
	v_add_f32_e32 v120, v121, v120
	v_add_f32_e32 v121, v187, v189
	;; [unrolled: 1-line block ×5, first 2 shown]
	v_mul_f32_e32 v120, 0xbf2c7751, v112
	v_sub_f32_e32 v120, v127, v120
	v_mul_f32_e32 v121, 0xbf7ee86f, v114
	v_add_f32_e32 v120, v92, v120
	v_sub_f32_e32 v121, v135, v121
	v_add_f32_e32 v120, v121, v120
	v_mul_f32_e32 v121, 0xbf4c4adb, v116
	v_sub_f32_e32 v121, v145, v121
	v_add_f32_e32 v120, v121, v120
	v_mul_f32_e32 v121, 0xbe3c28d5, v118
	;; [unrolled: 3-line block ×3, first 2 shown]
	v_mul_f32_e32 v252, 0x3f763a35, v126
	v_sub_f32_e32 v121, v161, v121
	v_mul_f32_e32 v246, 0x3f65296c, v133
	v_add_f32_e32 v120, v121, v120
	v_sub_f32_e32 v121, v172, v252
	v_mul_f32_e32 v82, 0x3eb8f4ab, v142
	v_add_f32_e32 v120, v121, v120
	v_sub_f32_e32 v121, v184, v246
	v_add_f32_e32 v120, v121, v120
	v_sub_f32_e32 v82, v194, v82
	v_add_f32_e32 v135, v82, v120
	v_mul_f32_e32 v82, 0x3f3d2fb0, v111
	v_add_f32_e32 v82, v82, v124
	v_mul_f32_e32 v120, 0x3dbcf732, v113
	v_add_f32_e32 v82, v91, v82
	v_add_f32_e32 v120, v120, v102
	v_mul_f32_e32 v102, 0xbf1a4643, v115
	v_add_f32_e32 v82, v120, v82
	;; [unrolled: 3-line block ×3, first 2 shown]
	v_add_f32_e32 v120, v102, v148
	v_mul_f32_e32 v102, 0xbf59a7d5, v119
	v_mul_f32_e32 v198, 0xbe8c1d8e, v123
	v_add_f32_e32 v82, v120, v82
	v_add_f32_e32 v120, v102, v156
	v_mul_f32_e32 v235, 0x3ee437d1, v129
	v_add_f32_e32 v82, v120, v82
	v_add_f32_e32 v120, v198, v165
	;; [unrolled: 3-line block ×3, first 2 shown]
	v_add_f32_e32 v82, v120, v82
	v_add_f32_e32 v120, v215, v188
	v_add_f32_e32 v134, v120, v82
	v_mul_f32_e32 v82, 0xbeb8f4ab, v112
	v_sub_f32_e32 v82, v237, v82
	v_mul_f32_e32 v102, 0xbf2c7751, v114
	v_add_f32_e32 v82, v92, v82
	v_sub_f32_e32 v120, v136, v102
	v_mul_f32_e32 v102, 0xbf65296c, v116
	v_add_f32_e32 v82, v120, v82
	v_sub_f32_e32 v120, v228, v102
	s_waitcnt vmcnt(0)
	v_fma_f32 v52, v119, s20, -v52
	v_add_f32_e32 v50, v52, v50
	buffer_load_dword v52, off, s[24:27], 0 offset:40 ; 4-byte Folded Reload
	v_mul_f32_e32 v102, 0xbf7ee86f, v118
	v_add_f32_e32 v82, v120, v82
	v_sub_f32_e32 v120, v143, v102
	v_mul_f32_e32 v102, 0xbf763a35, v122
	v_mul_f32_e32 v190, 0xbf4c4adb, v126
	v_add_f32_e32 v82, v120, v82
	v_sub_f32_e32 v120, v151, v102
	v_mul_f32_e32 v166, 0xbf06c442, v133
	v_add_f32_e32 v82, v120, v82
	v_sub_f32_e32 v120, v160, v190
	;; [unrolled: 3-line block ×3, first 2 shown]
	v_add_f32_e32 v82, v120, v82
	v_sub_f32_e32 v120, v183, v197
	v_mul_f32_e32 v102, 0x3f3d2fb0, v113
	v_add_f32_e32 v121, v120, v82
	v_add_f32_e32 v120, v102, v105
	buffer_load_dword v105, off, s[24:27], 0 offset:52 ; 4-byte Folded Reload
	v_fmac_f32_e32 v226, 0xbf06c442, v112
	v_fmac_f32_e32 v238, 0x3f65296c, v114
	;; [unrolled: 1-line block ×8, first 2 shown]
	v_add_f32_e32 v49, v53, v49
	v_add_f32_e32 v48, v54, v48
	v_fma_f32 v54, v113, s16, -v250
	v_fmac_f32_e32 v178, 0xbf4c4adb, v112
	v_fmac_f32_e32 v251, 0x3f763a35, v114
	;; [unrolled: 1-line block ×8, first 2 shown]
	v_mul_f32_e32 v82, 0x3f6eb680, v111
	v_add_f32_e32 v49, v55, v49
	v_add_f32_e32 v82, v82, v227
	v_fma_f32 v56, v113, s18, -v103
	v_add_f32_e32 v82, v91, v82
	v_mul_f32_e32 v102, 0x3ee437d1, v115
	v_add_f32_e32 v82, v120, v82
	buffer_load_dword v109, off, s[24:27], 0 offset:4 ; 4-byte Folded Reload
	v_mul_f32_e32 v242, 0xbf1a4643, v123
	v_mul_f32_e32 v247, 0xbf59a7d5, v129
	;; [unrolled: 1-line block ×3, first 2 shown]
	s_waitcnt vmcnt(2)
	v_fma_f32 v52, v123, s16, -v52
	v_add_f32_e32 v50, v52, v50
	buffer_load_dword v52, off, s[24:27], 0 offset:44 ; 4-byte Folded Reload
	s_waitcnt vmcnt(0)
	v_fma_f32 v52, v129, s18, -v52
	v_add_f32_e32 v50, v52, v50
	buffer_load_dword v52, off, s[24:27], 0 offset:48 ; 4-byte Folded Reload
	s_waitcnt vmcnt(0)
	v_fma_f32 v52, v137, s17, -v52
	v_add_f32_e32 v50, v52, v50
	v_add_f32_e32 v52, v92, v226
	;; [unrolled: 1-line block ×9, first 2 shown]
	v_fma_f32 v52, v111, s21, -v101
	v_add_f32_e32 v52, v91, v52
	v_add_f32_e32 v52, v54, v52
	v_fma_f32 v54, v115, s17, -v110
	buffer_load_dword v110, off, s[24:27], 0 offset:8 ; 4-byte Folded Reload
	v_add_f32_e32 v52, v54, v52
	v_fma_f32 v54, v117, s20, -v132
	v_add_f32_e32 v52, v54, v52
	v_fma_f32 v54, v119, s10, -v131
	;; [unrolled: 2-line block ×5, first 2 shown]
	v_add_f32_e32 v52, v54, v52
	v_add_f32_e32 v54, v92, v178
	;; [unrolled: 1-line block ×9, first 2 shown]
	v_fma_f32 v54, v111, s20, -v192
	v_add_f32_e32 v54, v91, v54
	v_add_f32_e32 v54, v56, v54
	v_fma_f32 v56, v115, s10, -v182
	v_add_f32_e32 v120, v102, v105
	v_mul_f32_e32 v102, 0x3dbcf732, v117
	v_add_f32_e32 v54, v56, v54
	v_fma_f32 v56, v117, s21, -v193
	v_add_f32_e32 v82, v120, v82
	v_add_f32_e32 v120, v102, v138
	v_mul_f32_e32 v102, 0xbe8c1d8e, v119
	v_add_f32_e32 v54, v56, v54
	v_fma_f32 v56, v119, s17, -v202
	v_add_f32_e32 v82, v120, v82
	v_add_f32_e32 v120, v102, v147
	v_add_f32_e32 v54, v56, v54
	v_fma_f32 v56, v123, s11, -v209
	v_add_f32_e32 v82, v120, v82
	v_add_f32_e32 v120, v242, v155
	;; [unrolled: 4-line block ×3, first 2 shown]
	v_mov_b32_e32 v225, v233
	v_add_f32_e32 v54, v56, v54
	v_fma_f32 v56, v137, s16, -v218
	v_add_f32_e32 v82, v120, v82
	v_add_f32_e32 v120, v205, v176
	v_mov_b32_e32 v226, v234
	v_add_f32_e32 v54, v56, v54
	v_mul_lo_u16_e32 v56, 17, v225
	v_add_f32_e32 v120, v120, v82
	v_lshl_add_u32 v56, v56, 3, v226
	buffer_load_dword v108, off, s[24:27], 0 ; 4-byte Folded Reload
	ds_write2_b64 v56, v[48:49], v[120:121] offset1:1
	ds_write2_b64 v56, v[134:135], v[149:150] offset0:2 offset1:3
	ds_write2_b64 v56, v[174:175], v[169:170] offset0:4 offset1:5
	;; [unrolled: 1-line block ×3, first 2 shown]
	buffer_load_dword v48, off, s[24:27], 0 offset:12 ; 4-byte Folded Reload
	buffer_load_dword v49, off, s[24:27], 0 offset:16 ; 4-byte Folded Reload
	v_lshlrev_b32_e32 v103, 3, v225
	s_waitcnt vmcnt(0)
	ds_write2_b64 v56, v[48:49], v[50:51] offset0:8 offset1:9
	ds_write2_b64 v56, v[52:53], v[54:55] offset0:10 offset1:11
	;; [unrolled: 1-line block ×4, first 2 shown]
	ds_write_b64 v56, v[80:81] offset:128
.LBB0_17:
	s_or_b64 exec, exec, s[8:9]
	v_add_u32_e32 v52, 0x400, v106
	s_waitcnt lgkmcnt(0)
	s_barrier
	ds_read2_b64 v[68:71], v52 offset0:93 offset1:195
	v_add_u32_e32 v52, 0xc00, v106
	ds_read2_b64 v[64:67], v52 offset0:58 offset1:160
	v_add_u32_e32 v52, 0x1000, v106
	;; [unrolled: 2-line block ×4, first 2 shown]
	ds_read2_b64 v[48:51], v106 offset1:102
	ds_read2_b64 v[52:55], v52 offset0:81 offset1:183
	s_and_saveexec_b64 s[8:9], s[2:3]
	s_cbranch_execz .LBB0_19
; %bb.18:
	v_add_u32_e32 v72, 0xd00, v106
	ds_read2_b64 v[72:75], v72 offset0:9 offset1:230
	v_add_u32_e32 v76, 0x1b00, v106
	ds_read_b64 v[93:94], v106 offset:1632
	ds_read_b64 v[89:90], v106 offset:10472
	ds_read2_b64 v[78:81], v76 offset0:3 offset1:224
	s_waitcnt lgkmcnt(3)
	v_mov_b32_e32 v97, v72
	v_mov_b32_e32 v98, v73
	;; [unrolled: 1-line block ×4, first 2 shown]
	s_waitcnt lgkmcnt(0)
	v_mov_b32_e32 v95, v78
	v_mov_b32_e32 v96, v79
.LBB0_19:
	s_or_b64 exec, exec, s[8:9]
	s_waitcnt lgkmcnt(5)
	v_mul_f32_e32 v72, v21, v69
	v_mul_f32_e32 v21, v21, v68
	v_fmac_f32_e32 v72, v20, v68
	v_fma_f32 v20, v20, v69, -v21
	s_waitcnt lgkmcnt(4)
	v_mul_f32_e32 v21, v23, v65
	v_mul_f32_e32 v23, v23, v64
	v_fmac_f32_e32 v21, v22, v64
	v_fma_f32 v22, v22, v65, -v23
	;; [unrolled: 5-line block ×4, first 2 shown]
	s_waitcnt lgkmcnt(0)
	v_mul_f32_e32 v19, v88, v53
	v_mul_f32_e32 v61, v9, v63
	;; [unrolled: 1-line block ×3, first 2 shown]
	v_fmac_f32_e32 v19, v87, v52
	v_mul_f32_e32 v52, v88, v52
	v_fmac_f32_e32 v61, v8, v62
	v_fma_f32 v62, v8, v63, -v9
	v_mul_f32_e32 v63, v11, v59
	v_mul_f32_e32 v8, v11, v58
	v_fma_f32 v52, v87, v53, -v52
	v_mul_f32_e32 v53, v13, v71
	v_mul_f32_e32 v13, v13, v70
	v_fmac_f32_e32 v63, v10, v58
	v_fma_f32 v58, v10, v59, -v8
	v_mul_f32_e32 v59, v86, v55
	v_mul_f32_e32 v8, v86, v54
	v_fmac_f32_e32 v53, v12, v70
	;; [unrolled: 4-line block ×3, first 2 shown]
	v_fma_f32 v54, v85, v55, -v8
	v_add_f32_e32 v8, v48, v21
	v_fmac_f32_e32 v57, v14, v66
	v_fma_f32 v60, v14, v67, -v12
	v_add_f32_e32 v14, v8, v17
	v_add_f32_e32 v8, v21, v17
	v_fma_f32 v15, -0.5, v8, v48
	v_sub_f32_e32 v8, v22, v18
	v_mov_b32_e32 v48, v15
	v_fmac_f32_e32 v48, 0xbf5db3d7, v8
	v_fmac_f32_e32 v15, 0x3f5db3d7, v8
	v_add_f32_e32 v8, v49, v22
	v_add_f32_e32 v55, v8, v18
	;; [unrolled: 1-line block ×3, first 2 shown]
	v_fma_f32 v22, -0.5, v8, v49
	v_sub_f32_e32 v8, v21, v17
	v_mov_b32_e32 v17, v22
	v_fmac_f32_e32 v17, 0x3f5db3d7, v8
	v_fmac_f32_e32 v22, 0xbf5db3d7, v8
	v_add_f32_e32 v8, v72, v23
	v_add_f32_e32 v18, v8, v19
	;; [unrolled: 1-line block ×3, first 2 shown]
	v_fmac_f32_e32 v72, -0.5, v8
	v_sub_f32_e32 v8, v16, v52
	v_mov_b32_e32 v11, v72
	v_fmac_f32_e32 v11, 0xbf5db3d7, v8
	v_fmac_f32_e32 v72, 0x3f5db3d7, v8
	v_add_f32_e32 v8, v20, v16
	v_add_f32_e32 v21, v8, v52
	;; [unrolled: 1-line block ×3, first 2 shown]
	v_fmac_f32_e32 v20, -0.5, v8
	v_sub_f32_e32 v8, v23, v19
	v_mov_b32_e32 v13, v20
	v_fmac_f32_e32 v20, 0xbf5db3d7, v8
	v_mul_f32_e32 v19, 0xbf5db3d7, v20
	v_mul_f32_e32 v20, -0.5, v20
	v_fmac_f32_e32 v13, 0x3f5db3d7, v8
	v_fmac_f32_e32 v19, -0.5, v72
	v_fmac_f32_e32 v20, 0x3f5db3d7, v72
	v_add_f32_e32 v8, v14, v18
	v_mul_f32_e32 v16, 0xbf5db3d7, v13
	v_add_f32_e32 v12, v15, v19
	v_mul_f32_e32 v23, 0.5, v13
	v_add_f32_e32 v13, v22, v20
	v_sub_f32_e32 v14, v14, v18
	v_sub_f32_e32 v18, v15, v19
	;; [unrolled: 1-line block ×3, first 2 shown]
	v_add_f32_e32 v20, v50, v57
	v_add_f32_e32 v52, v20, v63
	;; [unrolled: 1-line block ×3, first 2 shown]
	v_fma_f32 v50, -0.5, v20, v50
	v_add_f32_e32 v9, v55, v21
	v_sub_f32_e32 v15, v55, v21
	v_sub_f32_e32 v20, v60, v58
	v_mov_b32_e32 v55, v50
	v_fmac_f32_e32 v55, 0xbf5db3d7, v20
	v_fmac_f32_e32 v50, 0x3f5db3d7, v20
	v_add_f32_e32 v20, v51, v60
	v_add_f32_e32 v64, v20, v58
	;; [unrolled: 1-line block ×3, first 2 shown]
	v_fmac_f32_e32 v51, -0.5, v20
	v_sub_f32_e32 v20, v57, v63
	v_mov_b32_e32 v57, v51
	v_fmac_f32_e32 v57, 0x3f5db3d7, v20
	v_fmac_f32_e32 v51, 0xbf5db3d7, v20
	v_add_f32_e32 v20, v53, v61
	v_add_f32_e32 v58, v20, v59
	;; [unrolled: 1-line block ×3, first 2 shown]
	v_fmac_f32_e32 v23, 0x3f5db3d7, v11
	v_fmac_f32_e32 v53, -0.5, v20
	v_fmac_f32_e32 v16, 0.5, v11
	v_add_f32_e32 v11, v17, v23
	v_sub_f32_e32 v17, v17, v23
	v_sub_f32_e32 v20, v62, v54
	v_mov_b32_e32 v23, v53
	v_fmac_f32_e32 v23, 0xbf5db3d7, v20
	v_fmac_f32_e32 v53, 0x3f5db3d7, v20
	v_add_f32_e32 v20, v56, v62
	v_add_f32_e32 v60, v20, v54
	;; [unrolled: 1-line block ×3, first 2 shown]
	v_fmac_f32_e32 v56, -0.5, v20
	v_sub_f32_e32 v20, v61, v59
	v_mov_b32_e32 v49, v56
	v_fmac_f32_e32 v49, 0x3f5db3d7, v20
	v_fmac_f32_e32 v56, 0xbf5db3d7, v20
	v_mul_f32_e32 v54, 0xbf5db3d7, v49
	v_mul_f32_e32 v59, 0xbf5db3d7, v56
	v_mul_f32_e32 v61, 0.5, v49
	v_mul_f32_e32 v56, -0.5, v56
	v_add_f32_e32 v10, v48, v16
	v_fmac_f32_e32 v54, 0.5, v23
	v_fmac_f32_e32 v59, -0.5, v53
	v_fmac_f32_e32 v61, 0x3f5db3d7, v23
	v_fmac_f32_e32 v56, 0x3f5db3d7, v53
	v_sub_f32_e32 v16, v48, v16
	v_add_f32_e32 v20, v52, v58
	v_add_f32_e32 v22, v55, v54
	;; [unrolled: 1-line block ×6, first 2 shown]
	v_sub_f32_e32 v52, v52, v58
	v_sub_f32_e32 v54, v55, v54
	;; [unrolled: 1-line block ×6, first 2 shown]
	s_barrier
	ds_write2_b64 v109, v[8:9], v[10:11] offset1:17
	ds_write2_b64 v109, v[12:13], v[14:15] offset0:34 offset1:51
	ds_write2_b64 v109, v[16:17], v[18:19] offset0:68 offset1:85
	ds_write2_b64 v110, v[20:21], v[22:23] offset1:17
	ds_write2_b64 v110, v[48:49], v[52:53] offset0:34 offset1:51
	ds_write2_b64 v110, v[54:55], v[50:51] offset0:68 offset1:85
	s_and_saveexec_b64 s[8:9], s[2:3]
	s_cbranch_execz .LBB0_21
; %bb.20:
	v_mul_f32_e32 v13, v5, v96
	v_mul_f32_e32 v14, v84, v90
	;; [unrolled: 1-line block ×3, first 2 shown]
	v_fmac_f32_e32 v13, v4, v95
	v_fmac_f32_e32 v14, v83, v89
	v_mul_f32_e32 v8, v3, v99
	v_mul_f32_e32 v11, v3, v100
	v_fmac_f32_e32 v12, v0, v97
	v_add_f32_e32 v3, v13, v14
	v_fma_f32 v15, -0.5, v3, v12
	v_mul_f32_e32 v3, v5, v95
	v_fma_f32 v4, v4, v96, -v3
	v_mul_f32_e32 v3, v84, v89
	v_fma_f32 v5, v83, v90, -v3
	;; [unrolled: 2-line block ×3, first 2 shown]
	v_add_f32_e32 v1, v4, v5
	v_mul_f32_e32 v9, v7, v80
	v_fma_f32 v17, -0.5, v1, v0
	v_fma_f32 v8, v2, v100, -v8
	v_fma_f32 v9, v6, v81, -v9
	v_sub_f32_e32 v18, v13, v14
	v_mov_b32_e32 v19, v17
	v_add_f32_e32 v10, v8, v9
	v_mul_f32_e32 v7, v7, v81
	v_sub_f32_e32 v3, v4, v5
	v_mov_b32_e32 v16, v15
	v_fmac_f32_e32 v19, 0xbf5db3d7, v18
	v_fma_f32 v10, -0.5, v10, v94
	v_fmac_f32_e32 v11, v2, v99
	v_fmac_f32_e32 v7, v6, v80
	;; [unrolled: 1-line block ×3, first 2 shown]
	v_mul_f32_e32 v20, -0.5, v19
	v_fmac_f32_e32 v17, 0x3f5db3d7, v18
	v_add_f32_e32 v0, v0, v4
	v_mul_f32_e32 v19, 0xbf5db3d7, v19
	v_sub_f32_e32 v2, v11, v7
	v_mov_b32_e32 v6, v10
	v_fmac_f32_e32 v20, 0x3f5db3d7, v16
	v_fmac_f32_e32 v15, 0xbf5db3d7, v3
	v_mul_f32_e32 v18, 0.5, v17
	v_add_f32_e32 v22, v0, v5
	v_add_f32_e32 v0, v11, v7
	v_fmac_f32_e32 v19, -0.5, v16
	v_mul_f32_e32 v16, 0xbf5db3d7, v17
	v_add_f32_e32 v4, v93, v11
	v_fmac_f32_e32 v6, 0xbf5db3d7, v2
	v_fmac_f32_e32 v10, 0x3f5db3d7, v2
	;; [unrolled: 1-line block ×3, first 2 shown]
	v_add_f32_e32 v2, v94, v8
	v_fma_f32 v23, -0.5, v0, v93
	v_fmac_f32_e32 v16, 0.5, v15
	v_add_f32_e32 v15, v4, v7
	v_add_f32_e32 v4, v12, v13
	v_add_f32_e32 v21, v2, v9
	v_sub_f32_e32 v2, v8, v9
	v_mov_b32_e32 v8, v23
	v_add_f32_e32 v12, v4, v14
	v_sub_f32_e32 v3, v10, v18
	v_fmac_f32_e32 v8, 0x3f5db3d7, v2
	v_fmac_f32_e32 v23, 0xbf5db3d7, v2
	v_sub_f32_e32 v4, v15, v12
	v_add_f32_e32 v9, v10, v18
	v_add_f32_e32 v10, v15, v12
	v_lshl_add_u32 v12, v108, 3, v226
	v_sub_f32_e32 v1, v6, v20
	v_sub_f32_e32 v0, v8, v19
	v_add_f32_e32 v7, v6, v20
	v_add_f32_e32 v11, v21, v22
	;; [unrolled: 1-line block ×4, first 2 shown]
	v_add_u32_e32 v13, 0x2000, v12
	v_sub_f32_e32 v5, v21, v22
	v_sub_f32_e32 v2, v23, v16
	ds_write2_b64 v13, v[10:11], v[8:9] offset0:200 offset1:217
	ds_write2_b64 v13, v[6:7], v[4:5] offset0:234 offset1:251
	v_add_u32_e32 v4, 0x2800, v12
	ds_write2_b64 v4, v[2:3], v[0:1] offset0:12 offset1:29
.LBB0_21:
	s_or_b64 exec, exec, s[8:9]
	s_waitcnt lgkmcnt(0)
	s_barrier
	ds_read2_b64 v[0:3], v106 offset1:102
	v_add_u32_e32 v4, 0x400, v106
	ds_read2_b64 v[4:7], v4 offset0:76 offset1:178
	v_add_u32_e32 v8, 0x800, v106
	ds_read2_b64 v[8:11], v8 offset0:152 offset1:254
	v_add_u32_e32 v12, 0x1000, v106
	s_waitcnt lgkmcnt(2)
	v_mul_f32_e32 v50, v41, v3
	ds_read2_b64 v[12:15], v12 offset0:100 offset1:202
	v_fmac_f32_e32 v50, v40, v2
	v_mul_f32_e32 v2, v41, v2
	v_add_u32_e32 v16, 0x1800, v106
	v_fma_f32 v40, v40, v3, -v2
	s_waitcnt lgkmcnt(2)
	v_mul_f32_e32 v41, v43, v5
	v_mul_f32_e32 v2, v43, v4
	ds_read2_b64 v[16:19], v16 offset0:48 offset1:150
	v_fmac_f32_e32 v41, v42, v4
	v_fma_f32 v4, v42, v5, -v2
	v_mul_f32_e32 v5, v33, v7
	v_mul_f32_e32 v2, v33, v6
	v_fmac_f32_e32 v5, v32, v6
	v_fma_f32 v6, v32, v7, -v2
	s_waitcnt lgkmcnt(2)
	v_mul_f32_e32 v7, v35, v9
	v_mul_f32_e32 v2, v35, v8
	v_add_u32_e32 v20, 0x1c00, v106
	v_fmac_f32_e32 v7, v34, v8
	v_fma_f32 v8, v34, v9, -v2
	v_mul_f32_e32 v9, v29, v11
	v_mul_f32_e32 v2, v29, v10
	ds_read2_b64 v[20:23], v20 offset0:124 offset1:226
	ds_read_b64 v[48:49], v106 offset:9792
	v_fmac_f32_e32 v9, v28, v10
	v_fma_f32 v10, v28, v11, -v2
	s_waitcnt lgkmcnt(3)
	v_mul_f32_e32 v11, v31, v13
	v_mul_f32_e32 v2, v31, v12
	v_fmac_f32_e32 v11, v30, v12
	v_fma_f32 v12, v30, v13, -v2
	v_mul_f32_e32 v13, v25, v15
	v_mul_f32_e32 v2, v25, v14
	v_fmac_f32_e32 v13, v24, v14
	v_fma_f32 v14, v24, v15, -v2
	s_waitcnt lgkmcnt(2)
	v_mul_f32_e32 v15, v27, v17
	v_mul_f32_e32 v2, v27, v16
	v_add_f32_e32 v3, v1, v40
	v_fmac_f32_e32 v15, v26, v16
	v_fma_f32 v16, v26, v17, -v2
	v_mul_f32_e32 v17, v45, v19
	v_mul_f32_e32 v2, v45, v18
	v_add_f32_e32 v3, v3, v4
	v_fmac_f32_e32 v17, v44, v18
	v_fma_f32 v18, v44, v19, -v2
	s_waitcnt lgkmcnt(1)
	v_mul_f32_e32 v19, v47, v21
	v_mul_f32_e32 v2, v47, v20
	v_add_f32_e32 v3, v3, v6
	v_fmac_f32_e32 v19, v46, v20
	v_fma_f32 v20, v46, v21, -v2
	v_mul_f32_e32 v21, v37, v23
	v_mul_f32_e32 v2, v37, v22
	v_add_f32_e32 v3, v3, v8
	v_fmac_f32_e32 v21, v36, v22
	v_fma_f32 v22, v36, v23, -v2
	s_waitcnt lgkmcnt(0)
	v_mul_f32_e32 v2, v39, v48
	v_add_f32_e32 v3, v3, v10
	v_fma_f32 v24, v38, v49, -v2
	v_add_f32_e32 v2, v0, v50
	v_add_f32_e32 v3, v3, v12
	;; [unrolled: 1-line block ×12, first 2 shown]
	v_mul_f32_e32 v23, v39, v49
	v_add_f32_e32 v2, v2, v13
	v_add_f32_e32 v3, v3, v24
	;; [unrolled: 1-line block ×3, first 2 shown]
	v_sub_f32_e32 v24, v40, v24
	v_fmac_f32_e32 v23, v38, v48
	v_add_f32_e32 v2, v2, v15
	v_mul_f32_e32 v27, 0xbeedf032, v24
	v_mul_f32_e32 v31, 0xbf52af12, v24
	;; [unrolled: 1-line block ×6, first 2 shown]
	v_add_f32_e32 v2, v2, v17
	v_add_f32_e32 v25, v50, v23
	s_mov_b32 s9, 0x3f62ad3f
	v_mov_b32_e32 v28, v27
	s_mov_b32 s8, 0x3f116cb1
	v_mov_b32_e32 v32, v31
	s_mov_b32 s3, 0x3df6dbef
	v_mov_b32_e32 v36, v35
	s_mov_b32 s10, 0xbeb58ec6
	v_mov_b32_e32 v40, v39
	s_mov_b32 s11, 0xbf3f9e67
	v_mov_b32_e32 v45, v44
	s_mov_b32 s16, 0xbf788fa5
	v_mov_b32_e32 v48, v24
	v_add_f32_e32 v2, v2, v19
	v_fmac_f32_e32 v28, 0x3f62ad3f, v25
	v_fma_f32 v27, v25, s9, -v27
	v_fmac_f32_e32 v32, 0x3f116cb1, v25
	v_fma_f32 v31, v25, s8, -v31
	;; [unrolled: 2-line block ×6, first 2 shown]
	v_add_f32_e32 v2, v2, v21
	v_add_f32_e32 v28, v0, v28
	v_mul_f32_e32 v29, 0x3f62ad3f, v26
	v_add_f32_e32 v27, v0, v27
	v_add_f32_e32 v32, v0, v32
	v_mul_f32_e32 v33, 0x3f116cb1, v26
	;; [unrolled: 3-line block ×6, first 2 shown]
	v_add_f32_e32 v0, v0, v24
	v_add_f32_e32 v24, v4, v22
	v_sub_f32_e32 v4, v4, v22
	v_add_f32_e32 v2, v2, v23
	v_sub_f32_e32 v23, v50, v23
	v_mov_b32_e32 v30, v29
	v_mov_b32_e32 v34, v33
	;; [unrolled: 1-line block ×6, first 2 shown]
	v_mul_f32_e32 v22, 0xbf52af12, v4
	v_fmac_f32_e32 v30, 0x3eedf032, v23
	v_fmac_f32_e32 v29, 0xbeedf032, v23
	;; [unrolled: 1-line block ×12, first 2 shown]
	v_add_f32_e32 v23, v41, v21
	v_mov_b32_e32 v25, v22
	v_add_f32_e32 v30, v1, v30
	v_add_f32_e32 v29, v1, v29
	;; [unrolled: 1-line block ×12, first 2 shown]
	v_sub_f32_e32 v21, v41, v21
	v_fmac_f32_e32 v25, 0x3f116cb1, v23
	v_mul_f32_e32 v26, 0x3f116cb1, v24
	v_fma_f32 v22, v23, s8, -v22
	v_add_f32_e32 v25, v25, v28
	v_mov_b32_e32 v28, v26
	v_add_f32_e32 v22, v22, v27
	v_fmac_f32_e32 v26, 0xbf52af12, v21
	v_mul_f32_e32 v27, 0xbf6f5d39, v4
	v_fmac_f32_e32 v28, 0x3f52af12, v21
	v_add_f32_e32 v26, v26, v29
	v_mov_b32_e32 v29, v27
	v_add_f32_e32 v28, v28, v30
	v_fmac_f32_e32 v29, 0xbeb58ec6, v23
	v_mul_f32_e32 v30, 0xbeb58ec6, v24
	v_fma_f32 v27, v23, s10, -v27
	v_add_f32_e32 v29, v29, v32
	v_mov_b32_e32 v32, v30
	v_add_f32_e32 v27, v27, v31
	v_fmac_f32_e32 v30, 0xbf6f5d39, v21
	v_mul_f32_e32 v31, 0xbe750f2a, v4
	v_fmac_f32_e32 v32, 0x3f6f5d39, v21
	v_add_f32_e32 v30, v30, v33
	v_mov_b32_e32 v33, v31
	v_add_f32_e32 v32, v32, v34
	v_fmac_f32_e32 v33, 0xbf788fa5, v23
	v_mul_f32_e32 v34, 0xbf788fa5, v24
	v_fma_f32 v31, v23, s16, -v31
	v_add_f32_e32 v33, v33, v36
	v_mov_b32_e32 v36, v34
	v_add_f32_e32 v31, v31, v35
	v_fmac_f32_e32 v34, 0xbe750f2a, v21
	v_mul_f32_e32 v35, 0x3f29c268, v4
	v_fmac_f32_e32 v36, 0x3e750f2a, v21
	v_add_f32_e32 v34, v34, v37
	v_mov_b32_e32 v37, v35
	v_fma_f32 v35, v23, s11, -v35
	v_add_f32_e32 v36, v36, v38
	v_fmac_f32_e32 v37, 0xbf3f9e67, v23
	v_mul_f32_e32 v38, 0xbf3f9e67, v24
	v_add_f32_e32 v35, v35, v39
	v_mul_f32_e32 v39, 0x3f7e222b, v4
	v_add_f32_e32 v37, v37, v40
	v_mov_b32_e32 v40, v38
	v_fmac_f32_e32 v38, 0x3f29c268, v21
	v_mov_b32_e32 v41, v39
	v_fmac_f32_e32 v40, 0xbf29c268, v21
	v_add_f32_e32 v38, v38, v42
	v_fmac_f32_e32 v41, 0x3df6dbef, v23
	v_mul_f32_e32 v42, 0x3df6dbef, v24
	v_mul_f32_e32 v24, 0x3f62ad3f, v24
	v_add_f32_e32 v40, v40, v43
	v_add_f32_e32 v41, v41, v45
	v_mov_b32_e32 v43, v42
	v_fma_f32 v39, v23, s3, -v39
	v_mul_f32_e32 v4, 0x3eedf032, v4
	v_mov_b32_e32 v45, v24
	v_fmac_f32_e32 v43, 0xbf7e222b, v21
	v_add_f32_e32 v39, v39, v44
	v_fmac_f32_e32 v42, 0x3f7e222b, v21
	v_mov_b32_e32 v44, v4
	v_fmac_f32_e32 v45, 0xbeedf032, v21
	v_fma_f32 v4, v23, s9, -v4
	v_fmac_f32_e32 v24, 0x3eedf032, v21
	v_add_f32_e32 v21, v6, v20
	v_sub_f32_e32 v6, v6, v20
	v_fmac_f32_e32 v44, 0x3f62ad3f, v23
	v_add_f32_e32 v0, v4, v0
	v_add_f32_e32 v4, v5, v19
	v_sub_f32_e32 v5, v5, v19
	v_mul_f32_e32 v19, 0xbf7e222b, v6
	v_mul_f32_e32 v23, 0x3df6dbef, v21
	v_add_f32_e32 v1, v24, v1
	v_mov_b32_e32 v20, v19
	v_mov_b32_e32 v24, v23
	v_fma_f32 v19, v4, s3, -v19
	v_fmac_f32_e32 v23, 0xbf7e222b, v5
	v_fmac_f32_e32 v20, 0x3df6dbef, v4
	v_add_f32_e32 v19, v19, v22
	v_add_f32_e32 v22, v23, v26
	v_mul_f32_e32 v23, 0xbe750f2a, v6
	v_add_f32_e32 v20, v20, v25
	v_mov_b32_e32 v25, v23
	v_fma_f32 v23, v4, s16, -v23
	v_fmac_f32_e32 v25, 0xbf788fa5, v4
	v_add_f32_e32 v23, v23, v27
	v_mul_f32_e32 v27, 0x3f6f5d39, v6
	v_fmac_f32_e32 v24, 0x3f7e222b, v5
	v_add_f32_e32 v25, v25, v29
	v_mul_f32_e32 v26, 0xbf788fa5, v21
	v_mov_b32_e32 v29, v27
	v_fma_f32 v27, v4, s10, -v27
	v_add_f32_e32 v24, v24, v28
	v_mov_b32_e32 v28, v26
	v_fmac_f32_e32 v26, 0xbe750f2a, v5
	v_fmac_f32_e32 v29, 0xbeb58ec6, v4
	v_add_f32_e32 v27, v27, v31
	v_mul_f32_e32 v31, 0x3eedf032, v6
	v_fmac_f32_e32 v28, 0x3e750f2a, v5
	v_add_f32_e32 v26, v26, v30
	v_add_f32_e32 v29, v29, v33
	v_mul_f32_e32 v30, 0xbeb58ec6, v21
	v_mov_b32_e32 v33, v31
	v_fma_f32 v31, v4, s9, -v31
	v_add_f32_e32 v28, v28, v32
	v_mov_b32_e32 v32, v30
	v_fmac_f32_e32 v30, 0x3f6f5d39, v5
	v_fmac_f32_e32 v33, 0x3f62ad3f, v4
	v_add_f32_e32 v31, v31, v35
	v_mul_f32_e32 v35, 0xbf52af12, v6
	v_fmac_f32_e32 v32, 0xbf6f5d39, v5
	v_add_f32_e32 v30, v30, v34
	v_add_f32_e32 v33, v33, v37
	v_mul_f32_e32 v34, 0x3f62ad3f, v21
	v_mov_b32_e32 v37, v35
	v_fma_f32 v35, v4, s8, -v35
	v_mul_f32_e32 v6, 0xbf29c268, v6
	v_add_f32_e32 v32, v32, v36
	v_mov_b32_e32 v36, v34
	v_fmac_f32_e32 v34, 0x3eedf032, v5
	v_add_f32_e32 v35, v35, v39
	v_mov_b32_e32 v39, v6
	v_fmac_f32_e32 v36, 0xbeedf032, v5
	v_add_f32_e32 v34, v34, v38
	v_fmac_f32_e32 v37, 0x3f116cb1, v4
	v_mul_f32_e32 v38, 0x3f116cb1, v21
	v_fmac_f32_e32 v39, 0xbf3f9e67, v4
	v_mul_f32_e32 v21, 0xbf3f9e67, v21
	v_fma_f32 v4, v4, s11, -v6
	v_add_f32_e32 v36, v36, v40
	v_add_f32_e32 v37, v37, v41
	v_mov_b32_e32 v40, v38
	v_mov_b32_e32 v41, v21
	v_add_f32_e32 v0, v4, v0
	v_add_f32_e32 v4, v7, v17
	v_sub_f32_e32 v6, v7, v17
	v_sub_f32_e32 v7, v8, v18
	v_fmac_f32_e32 v40, 0x3f52af12, v5
	v_fmac_f32_e32 v38, 0xbf52af12, v5
	;; [unrolled: 1-line block ×4, first 2 shown]
	v_add_f32_e32 v5, v8, v18
	v_mul_f32_e32 v8, 0xbf6f5d39, v7
	v_mov_b32_e32 v17, v8
	v_fma_f32 v8, v4, s10, -v8
	v_fmac_f32_e32 v17, 0xbeb58ec6, v4
	v_mul_f32_e32 v18, 0xbeb58ec6, v5
	v_add_f32_e32 v8, v8, v19
	v_mul_f32_e32 v19, 0x3f29c268, v7
	v_add_f32_e32 v1, v21, v1
	v_add_f32_e32 v17, v17, v20
	v_mov_b32_e32 v20, v18
	v_fmac_f32_e32 v18, 0xbf6f5d39, v6
	v_mov_b32_e32 v21, v19
	v_fma_f32 v19, v4, s11, -v19
	v_fmac_f32_e32 v20, 0x3f6f5d39, v6
	v_add_f32_e32 v18, v18, v22
	v_fmac_f32_e32 v21, 0xbf3f9e67, v4
	v_mul_f32_e32 v22, 0xbf3f9e67, v5
	v_add_f32_e32 v19, v19, v23
	v_mul_f32_e32 v23, 0x3eedf032, v7
	v_add_f32_e32 v20, v20, v24
	v_add_f32_e32 v21, v21, v25
	v_mov_b32_e32 v24, v22
	v_fmac_f32_e32 v22, 0x3f29c268, v6
	v_mov_b32_e32 v25, v23
	v_fma_f32 v23, v4, s9, -v23
	v_fmac_f32_e32 v24, 0xbf29c268, v6
	v_add_f32_e32 v22, v22, v26
	;; [unrolled: 12-line block ×3, first 2 shown]
	v_fmac_f32_e32 v29, 0x3df6dbef, v4
	v_mul_f32_e32 v30, 0x3df6dbef, v5
	v_add_f32_e32 v27, v27, v31
	v_mul_f32_e32 v31, 0x3e750f2a, v7
	v_add_f32_e32 v28, v28, v32
	v_add_f32_e32 v29, v29, v33
	v_mov_b32_e32 v32, v30
	v_fmac_f32_e32 v30, 0xbf7e222b, v6
	v_mov_b32_e32 v33, v31
	v_add_f32_e32 v30, v30, v34
	v_fmac_f32_e32 v33, 0xbf788fa5, v4
	v_mul_f32_e32 v34, 0xbf788fa5, v5
	v_fma_f32 v31, v4, s16, -v31
	v_mul_f32_e32 v7, 0x3f52af12, v7
	v_mul_f32_e32 v5, 0x3f116cb1, v5
	v_fmac_f32_e32 v32, 0x3f7e222b, v6
	v_add_f32_e32 v33, v33, v37
	v_add_f32_e32 v31, v31, v35
	v_mov_b32_e32 v35, v7
	v_mov_b32_e32 v37, v5
	v_fmac_f32_e32 v5, 0x3f52af12, v6
	v_add_f32_e32 v32, v32, v36
	v_mov_b32_e32 v36, v34
	v_fmac_f32_e32 v35, 0x3f116cb1, v4
	v_fma_f32 v4, v4, s8, -v7
	v_add_f32_e32 v1, v5, v1
	v_add_f32_e32 v5, v10, v16
	v_sub_f32_e32 v7, v10, v16
	v_fmac_f32_e32 v36, 0xbe750f2a, v6
	v_fmac_f32_e32 v34, 0x3e750f2a, v6
	;; [unrolled: 1-line block ×3, first 2 shown]
	v_add_f32_e32 v0, v4, v0
	v_add_f32_e32 v4, v9, v15
	v_sub_f32_e32 v6, v9, v15
	v_mul_f32_e32 v9, 0xbf29c268, v7
	v_mul_f32_e32 v15, 0xbf3f9e67, v5
	v_mov_b32_e32 v10, v9
	v_mov_b32_e32 v16, v15
	v_fma_f32 v9, v4, s11, -v9
	v_fmac_f32_e32 v15, 0xbf29c268, v6
	v_fmac_f32_e32 v10, 0xbf3f9e67, v4
	v_add_f32_e32 v8, v9, v8
	v_add_f32_e32 v9, v15, v18
	v_mul_f32_e32 v15, 0x3f7e222b, v7
	v_add_f32_e32 v10, v10, v17
	v_mov_b32_e32 v17, v15
	v_fma_f32 v15, v4, s3, -v15
	v_fmac_f32_e32 v16, 0x3f29c268, v6
	v_fmac_f32_e32 v17, 0x3df6dbef, v4
	v_mul_f32_e32 v18, 0x3df6dbef, v5
	v_add_f32_e32 v15, v15, v19
	v_mul_f32_e32 v19, 0xbf52af12, v7
	v_add_f32_e32 v16, v16, v20
	v_add_f32_e32 v17, v17, v21
	v_mov_b32_e32 v20, v18
	v_fmac_f32_e32 v18, 0x3f7e222b, v6
	v_mov_b32_e32 v21, v19
	v_fma_f32 v19, v4, s8, -v19
	v_fmac_f32_e32 v20, 0xbf7e222b, v6
	v_add_f32_e32 v18, v18, v22
	v_fmac_f32_e32 v21, 0x3f116cb1, v4
	v_mul_f32_e32 v22, 0x3f116cb1, v5
	v_add_f32_e32 v19, v19, v23
	v_mul_f32_e32 v23, 0x3e750f2a, v7
	v_add_f32_e32 v20, v20, v24
	v_add_f32_e32 v21, v21, v25
	v_mov_b32_e32 v24, v22
	v_fmac_f32_e32 v22, 0xbf52af12, v6
	v_mov_b32_e32 v25, v23
	v_fma_f32 v23, v4, s16, -v23
	v_fmac_f32_e32 v24, 0x3f52af12, v6
	v_add_f32_e32 v22, v22, v26
	v_fmac_f32_e32 v25, 0xbf788fa5, v4
	v_mul_f32_e32 v26, 0xbf788fa5, v5
	v_add_f32_e32 v23, v23, v27
	v_mul_f32_e32 v27, 0x3eedf032, v7
	v_add_f32_e32 v24, v24, v28
	v_add_f32_e32 v25, v25, v29
	v_mov_b32_e32 v28, v26
	v_fmac_f32_e32 v26, 0x3e750f2a, v6
	v_mov_b32_e32 v29, v27
	v_add_f32_e32 v45, v45, v49
	v_add_f32_e32 v26, v26, v30
	v_fmac_f32_e32 v29, 0x3f62ad3f, v4
	v_mul_f32_e32 v30, 0x3f62ad3f, v5
	v_mul_f32_e32 v5, 0xbeb58ec6, v5
	v_add_f32_e32 v44, v44, v48
	v_add_f32_e32 v41, v41, v45
	;; [unrolled: 1-line block ×3, first 2 shown]
	v_fma_f32 v27, v4, s9, -v27
	v_mul_f32_e32 v7, 0xbf6f5d39, v7
	v_mov_b32_e32 v33, v5
	v_add_f32_e32 v42, v42, v46
	v_add_f32_e32 v39, v39, v44
	;; [unrolled: 1-line block ×4, first 2 shown]
	v_mov_b32_e32 v31, v7
	v_fmac_f32_e32 v33, 0x3f6f5d39, v6
	v_add_f32_e32 v43, v43, v47
	v_add_f32_e32 v38, v38, v42
	;; [unrolled: 1-line block ×3, first 2 shown]
	v_fmac_f32_e32 v28, 0xbe750f2a, v6
	v_fmac_f32_e32 v31, 0xbeb58ec6, v4
	v_add_f32_e32 v33, v33, v37
	v_fmac_f32_e32 v5, 0xbf6f5d39, v6
	v_add_f32_e32 v37, v12, v14
	v_add_f32_e32 v40, v40, v43
	;; [unrolled: 1-line block ×4, first 2 shown]
	v_mov_b32_e32 v32, v30
	v_fmac_f32_e32 v30, 0x3eedf032, v6
	v_add_f32_e32 v31, v31, v35
	v_fma_f32 v4, v4, s10, -v7
	v_add_f32_e32 v35, v5, v1
	v_sub_f32_e32 v39, v12, v14
	v_mul_f32_e32 v5, 0xbf788fa5, v37
	v_add_f32_e32 v36, v36, v40
	v_fmac_f32_e32 v32, 0xbeedf032, v6
	v_add_f32_e32 v30, v30, v34
	v_add_f32_e32 v34, v4, v0
	v_sub_f32_e32 v38, v11, v13
	v_mul_f32_e32 v4, 0xbe750f2a, v39
	v_mov_b32_e32 v1, v5
	v_add_f32_e32 v32, v32, v36
	v_add_f32_e32 v36, v11, v13
	v_mov_b32_e32 v0, v4
	v_fmac_f32_e32 v1, 0x3e750f2a, v38
	v_fmac_f32_e32 v5, 0xbe750f2a, v38
	;; [unrolled: 1-line block ×3, first 2 shown]
	v_add_f32_e32 v1, v1, v16
	v_fma_f32 v4, v36, s16, -v4
	v_add_f32_e32 v5, v5, v9
	v_mul_f32_e32 v9, 0x3f62ad3f, v37
	v_mul_f32_e32 v12, 0xbf29c268, v39
	;; [unrolled: 1-line block ×4, first 2 shown]
	v_add_f32_e32 v0, v0, v10
	v_add_f32_e32 v4, v4, v8
	v_mul_f32_e32 v8, 0x3eedf032, v39
	v_mov_b32_e32 v7, v9
	v_mov_b32_e32 v10, v12
	;; [unrolled: 1-line block ×5, first 2 shown]
	v_fmac_f32_e32 v7, 0xbeedf032, v38
	v_fmac_f32_e32 v10, 0xbf3f9e67, v36
	;; [unrolled: 1-line block ×5, first 2 shown]
	v_add_f32_e32 v7, v7, v20
	v_fmac_f32_e32 v9, 0x3eedf032, v38
	v_add_f32_e32 v10, v10, v21
	v_add_f32_e32 v11, v11, v24
	v_fma_f32 v12, v36, s11, -v12
	v_fmac_f32_e32 v13, 0xbf29c268, v38
	v_add_f32_e32 v14, v14, v25
	v_fma_f32 v16, v36, s8, -v16
	v_mul_f32_e32 v20, 0xbf6f5d39, v39
	v_mul_f32_e32 v21, 0xbeb58ec6, v37
	;; [unrolled: 1-line block ×4, first 2 shown]
	v_add_f32_e32 v6, v6, v17
	v_fma_f32 v8, v36, s9, -v8
	v_add_f32_e32 v9, v9, v18
	v_add_f32_e32 v12, v12, v19
	;; [unrolled: 1-line block ×3, first 2 shown]
	v_mul_f32_e32 v17, 0x3f116cb1, v37
	v_add_f32_e32 v16, v16, v23
	v_mov_b32_e32 v18, v20
	v_mov_b32_e32 v19, v21
	;; [unrolled: 1-line block ×4, first 2 shown]
	v_add_f32_e32 v8, v8, v15
	v_mov_b32_e32 v15, v17
	v_fmac_f32_e32 v18, 0xbeb58ec6, v36
	v_fmac_f32_e32 v19, 0x3f6f5d39, v38
	;; [unrolled: 1-line block ×6, first 2 shown]
	v_add_f32_e32 v18, v18, v29
	v_add_f32_e32 v19, v19, v32
	v_fma_f32 v20, v36, s10, -v20
	v_fmac_f32_e32 v21, 0xbf6f5d39, v38
	v_add_f32_e32 v22, v22, v31
	v_add_f32_e32 v23, v23, v33
	v_fma_f32 v24, v36, s3, -v24
	v_fmac_f32_e32 v25, 0x3f7e222b, v38
	ds_write_b64 v107, v[2:3]
	ds_write2_b64 v107, v[0:1], v[6:7] offset0:102 offset1:204
	v_add_u32_e32 v0, 0xc00, v107
	s_movk_i32 s2, 0x1000
	v_add_f32_e32 v15, v15, v28
	v_add_f32_e32 v17, v17, v26
	;; [unrolled: 1-line block ×6, first 2 shown]
	v_add_u32_e32 v3, 0x800, v107
	ds_write2_b64 v0, v[18:19], v[22:23] offset0:126 offset1:228
	v_add_u32_e32 v2, 0x1400, v107
	v_add_u32_e32 v1, 0x1800, v107
	s_movk_i32 s3, 0x2000
	v_add_u32_e32 v0, 0x2000, v107
	ds_write2_b64 v3, v[10:11], v[14:15] offset0:50 offset1:152
	ds_write2_b64 v2, v[24:25], v[20:21] offset0:74 offset1:176
	;; [unrolled: 1-line block ×4, first 2 shown]
	s_waitcnt lgkmcnt(0)
	s_barrier
	s_and_b64 exec, exec, s[0:1]
	s_cbranch_execz .LBB0_23
; %bb.22:
	global_load_dwordx2 v[4:5], v103, s[12:13]
	ds_read_b64 v[8:9], v107
	v_mad_u64_u32 v[6:7], s[0:1], s6, v104, 0
	v_mad_u64_u32 v[10:11], s[0:1], s4, v225, 0
	s_waitcnt lgkmcnt(0)
	v_mad_u64_u32 v[12:13], s[6:7], s7, v104, v[7:8]
	s_mov_b32 s0, 0x18b64019
	s_mov_b32 s1, 0x3f48b640
	v_mad_u64_u32 v[13:14], s[6:7], s5, v225, v[11:12]
	v_mov_b32_e32 v15, s15
	s_mulk_i32 s5, 0x270
	v_mov_b32_e32 v11, v13
	v_lshlrev_b64 v[10:11], 3, v[10:11]
	s_mul_hi_u32 s6, s4, 0x270
	s_mulk_i32 s4, 0x270
	s_add_i32 s5, s6, s5
	s_waitcnt vmcnt(0)
	v_mul_f32_e32 v7, v9, v5
	v_mul_f32_e32 v5, v8, v5
	v_fmac_f32_e32 v7, v8, v4
	v_fma_f32 v8, v4, v9, -v5
	v_cvt_f64_f32_e32 v[4:5], v7
	v_cvt_f64_f32_e32 v[8:9], v8
	v_mov_b32_e32 v7, v12
	v_lshlrev_b64 v[6:7], 3, v[6:7]
	v_mul_f64 v[4:5], v[4:5], s[0:1]
	v_mul_f64 v[8:9], v[8:9], s[0:1]
	v_add_co_u32_e32 v6, vcc, s14, v6
	v_addc_co_u32_e32 v7, vcc, v15, v7, vcc
	v_cvt_f32_f64_e32 v4, v[4:5]
	v_cvt_f32_f64_e32 v5, v[8:9]
	v_add_co_u32_e32 v8, vcc, v6, v10
	v_addc_co_u32_e32 v9, vcc, v7, v11, vcc
	global_store_dwordx2 v[8:9], v[4:5], off
	global_load_dwordx2 v[10:11], v103, s[12:13] offset:624
	ds_read2_b64 v[4:7], v107 offset0:78 offset1:156
	v_add_co_u32_e32 v8, vcc, s4, v8
	s_waitcnt vmcnt(0) lgkmcnt(0)
	v_mul_f32_e32 v12, v5, v11
	v_mul_f32_e32 v11, v4, v11
	v_fmac_f32_e32 v12, v4, v10
	v_fma_f32 v10, v10, v5, -v11
	v_cvt_f64_f32_e32 v[4:5], v12
	v_cvt_f64_f32_e32 v[10:11], v10
	v_mov_b32_e32 v12, s5
	v_addc_co_u32_e32 v9, vcc, v9, v12, vcc
	v_mul_f64 v[4:5], v[4:5], s[0:1]
	v_mul_f64 v[10:11], v[10:11], s[0:1]
	v_cvt_f32_f64_e32 v4, v[4:5]
	v_cvt_f32_f64_e32 v5, v[10:11]
	global_store_dwordx2 v[8:9], v[4:5], off
	global_load_dwordx2 v[4:5], v103, s[12:13] offset:1248
	v_add_co_u32_e32 v8, vcc, s4, v8
	s_waitcnt vmcnt(0)
	v_mul_f32_e32 v10, v7, v5
	v_mul_f32_e32 v5, v6, v5
	v_fmac_f32_e32 v10, v6, v4
	v_fma_f32 v6, v4, v7, -v5
	v_cvt_f64_f32_e32 v[4:5], v10
	v_cvt_f64_f32_e32 v[6:7], v6
	v_mov_b32_e32 v10, s5
	v_addc_co_u32_e32 v9, vcc, v9, v10, vcc
	v_mul_f64 v[4:5], v[4:5], s[0:1]
	v_mul_f64 v[6:7], v[6:7], s[0:1]
	v_cvt_f32_f64_e32 v4, v[4:5]
	v_cvt_f32_f64_e32 v5, v[6:7]
	global_store_dwordx2 v[8:9], v[4:5], off
	global_load_dwordx2 v[10:11], v103, s[12:13] offset:1872
	v_add_u32_e32 v4, 0x400, v107
	ds_read2_b64 v[4:7], v4 offset0:106 offset1:184
	v_add_co_u32_e32 v8, vcc, s4, v8
	s_waitcnt vmcnt(0) lgkmcnt(0)
	v_mul_f32_e32 v12, v5, v11
	v_mul_f32_e32 v11, v4, v11
	v_fmac_f32_e32 v12, v4, v10
	v_fma_f32 v10, v10, v5, -v11
	v_cvt_f64_f32_e32 v[4:5], v12
	v_cvt_f64_f32_e32 v[10:11], v10
	v_mov_b32_e32 v12, s5
	v_addc_co_u32_e32 v9, vcc, v9, v12, vcc
	v_mul_f64 v[4:5], v[4:5], s[0:1]
	v_mul_f64 v[10:11], v[10:11], s[0:1]
	v_cvt_f32_f64_e32 v4, v[4:5]
	v_cvt_f32_f64_e32 v5, v[10:11]
	global_store_dwordx2 v[8:9], v[4:5], off
	global_load_dwordx2 v[4:5], v103, s[12:13] offset:2496
	s_waitcnt vmcnt(0)
	v_mul_f32_e32 v10, v7, v5
	v_mul_f32_e32 v5, v6, v5
	v_fmac_f32_e32 v10, v6, v4
	v_fma_f32 v6, v4, v7, -v5
	v_cvt_f64_f32_e32 v[4:5], v10
	v_cvt_f64_f32_e32 v[6:7], v6
	v_mov_b32_e32 v10, s5
	v_mul_f64 v[4:5], v[4:5], s[0:1]
	v_mul_f64 v[6:7], v[6:7], s[0:1]
	v_cvt_f32_f64_e32 v4, v[4:5]
	v_cvt_f32_f64_e32 v5, v[6:7]
	v_add_co_u32_e32 v7, vcc, s4, v8
	v_addc_co_u32_e32 v8, vcc, v9, v10, vcc
	global_store_dwordx2 v[7:8], v[4:5], off
	global_load_dwordx2 v[9:10], v103, s[12:13] offset:3120
	ds_read2_b64 v[3:6], v3 offset0:134 offset1:212
	v_add_co_u32_e32 v7, vcc, s4, v7
	s_waitcnt vmcnt(0) lgkmcnt(0)
	v_mul_f32_e32 v11, v4, v10
	v_mul_f32_e32 v10, v3, v10
	v_fmac_f32_e32 v11, v3, v9
	v_fma_f32 v9, v9, v4, -v10
	v_cvt_f64_f32_e32 v[3:4], v11
	v_cvt_f64_f32_e32 v[9:10], v9
	v_mov_b32_e32 v11, s5
	v_addc_co_u32_e32 v8, vcc, v8, v11, vcc
	v_mul_f64 v[3:4], v[3:4], s[0:1]
	v_mul_f64 v[9:10], v[9:10], s[0:1]
	v_add_co_u32_e32 v13, vcc, s12, v103
	v_cvt_f32_f64_e32 v3, v[3:4]
	v_cvt_f32_f64_e32 v4, v[9:10]
	global_store_dwordx2 v[7:8], v[3:4], off
	global_load_dwordx2 v[3:4], v103, s[12:13] offset:3744
	s_waitcnt vmcnt(0)
	v_mul_f32_e32 v9, v6, v4
	v_mul_f32_e32 v4, v5, v4
	v_fmac_f32_e32 v9, v5, v3
	v_fma_f32 v5, v3, v6, -v4
	v_cvt_f64_f32_e32 v[3:4], v9
	v_cvt_f64_f32_e32 v[5:6], v5
	v_mov_b32_e32 v9, s13
	v_addc_co_u32_e32 v14, vcc, 0, v9, vcc
	v_mul_f64 v[3:4], v[3:4], s[0:1]
	v_mul_f64 v[5:6], v[5:6], s[0:1]
	v_add_co_u32_e32 v9, vcc, s2, v13
	v_addc_co_u32_e32 v10, vcc, 0, v14, vcc
	v_add_co_u32_e32 v7, vcc, s4, v7
	v_cvt_f32_f64_e32 v3, v[3:4]
	v_cvt_f32_f64_e32 v4, v[5:6]
	v_addc_co_u32_e32 v8, vcc, v8, v11, vcc
	global_store_dwordx2 v[7:8], v[3:4], off
	global_load_dwordx2 v[11:12], v[9:10], off offset:272
	v_add_u32_e32 v3, 0x1000, v107
	ds_read2_b64 v[3:6], v3 offset0:34 offset1:112
	v_add_co_u32_e32 v7, vcc, s4, v7
	s_waitcnt vmcnt(0) lgkmcnt(0)
	v_mul_f32_e32 v15, v4, v12
	v_mul_f32_e32 v12, v3, v12
	v_fmac_f32_e32 v15, v3, v11
	v_fma_f32 v11, v11, v4, -v12
	v_cvt_f64_f32_e32 v[3:4], v15
	v_cvt_f64_f32_e32 v[11:12], v11
	v_mov_b32_e32 v15, s5
	v_addc_co_u32_e32 v8, vcc, v8, v15, vcc
	v_mul_f64 v[3:4], v[3:4], s[0:1]
	v_mul_f64 v[11:12], v[11:12], s[0:1]
	v_cvt_f32_f64_e32 v3, v[3:4]
	v_cvt_f32_f64_e32 v4, v[11:12]
	global_store_dwordx2 v[7:8], v[3:4], off
	global_load_dwordx2 v[3:4], v[9:10], off offset:896
	s_waitcnt vmcnt(0)
	v_mul_f32_e32 v11, v6, v4
	v_mul_f32_e32 v4, v5, v4
	v_fmac_f32_e32 v11, v5, v3
	v_fma_f32 v5, v3, v6, -v4
	v_cvt_f64_f32_e32 v[3:4], v11
	v_cvt_f64_f32_e32 v[5:6], v5
	v_mov_b32_e32 v11, s5
	v_mul_f64 v[3:4], v[3:4], s[0:1]
	v_mul_f64 v[5:6], v[5:6], s[0:1]
	v_cvt_f32_f64_e32 v3, v[3:4]
	v_cvt_f32_f64_e32 v4, v[5:6]
	v_add_co_u32_e32 v6, vcc, s4, v7
	v_addc_co_u32_e32 v7, vcc, v8, v11, vcc
	global_store_dwordx2 v[6:7], v[3:4], off
	global_load_dwordx2 v[11:12], v[9:10], off offset:1520
	ds_read2_b64 v[2:5], v2 offset0:62 offset1:140
	v_add_co_u32_e32 v6, vcc, s4, v6
	s_waitcnt vmcnt(0) lgkmcnt(0)
	v_mul_f32_e32 v8, v3, v12
	v_mul_f32_e32 v12, v2, v12
	v_fmac_f32_e32 v8, v2, v11
	v_fma_f32 v11, v11, v3, -v12
	v_cvt_f64_f32_e32 v[2:3], v8
	v_cvt_f64_f32_e32 v[11:12], v11
	v_mov_b32_e32 v8, s5
	v_addc_co_u32_e32 v7, vcc, v7, v8, vcc
	v_mul_f64 v[2:3], v[2:3], s[0:1]
	v_mul_f64 v[11:12], v[11:12], s[0:1]
	v_cvt_f32_f64_e32 v2, v[2:3]
	v_cvt_f32_f64_e32 v3, v[11:12]
	global_store_dwordx2 v[6:7], v[2:3], off
	global_load_dwordx2 v[2:3], v[9:10], off offset:2144
	s_waitcnt vmcnt(0)
	v_mul_f32_e32 v8, v5, v3
	v_mul_f32_e32 v3, v4, v3
	v_fmac_f32_e32 v8, v4, v2
	v_fma_f32 v4, v2, v5, -v3
	v_cvt_f64_f32_e32 v[2:3], v8
	v_cvt_f64_f32_e32 v[4:5], v4
	v_mov_b32_e32 v8, s5
	v_mul_f64 v[2:3], v[2:3], s[0:1]
	v_mul_f64 v[4:5], v[4:5], s[0:1]
	v_cvt_f32_f64_e32 v2, v[2:3]
	v_cvt_f32_f64_e32 v3, v[4:5]
	v_add_co_u32_e32 v5, vcc, s4, v6
	v_addc_co_u32_e32 v6, vcc, v7, v8, vcc
	global_store_dwordx2 v[5:6], v[2:3], off
	global_load_dwordx2 v[7:8], v[9:10], off offset:2768
	ds_read2_b64 v[1:4], v1 offset0:90 offset1:168
	v_add_co_u32_e32 v5, vcc, s4, v5
	s_waitcnt vmcnt(0) lgkmcnt(0)
	v_mul_f32_e32 v11, v2, v8
	v_mul_f32_e32 v8, v1, v8
	v_fmac_f32_e32 v11, v1, v7
	v_fma_f32 v7, v7, v2, -v8
	v_cvt_f64_f32_e32 v[1:2], v11
	v_cvt_f64_f32_e32 v[7:8], v7
	v_mov_b32_e32 v11, s5
	v_addc_co_u32_e32 v6, vcc, v6, v11, vcc
	v_mul_f64 v[1:2], v[1:2], s[0:1]
	v_mul_f64 v[7:8], v[7:8], s[0:1]
	v_cvt_f32_f64_e32 v1, v[1:2]
	v_cvt_f32_f64_e32 v2, v[7:8]
	global_store_dwordx2 v[5:6], v[1:2], off
	global_load_dwordx2 v[1:2], v[9:10], off offset:3392
	v_add_co_u32_e32 v5, vcc, s4, v5
	s_waitcnt vmcnt(0)
	v_mul_f32_e32 v7, v4, v2
	v_mul_f32_e32 v2, v3, v2
	v_fmac_f32_e32 v7, v3, v1
	v_fma_f32 v3, v1, v4, -v2
	v_cvt_f64_f32_e32 v[1:2], v7
	v_cvt_f64_f32_e32 v[3:4], v3
	v_mov_b32_e32 v7, s5
	v_addc_co_u32_e32 v6, vcc, v6, v7, vcc
	v_mul_f64 v[1:2], v[1:2], s[0:1]
	v_mul_f64 v[3:4], v[3:4], s[0:1]
	v_cvt_f32_f64_e32 v1, v[1:2]
	v_cvt_f32_f64_e32 v2, v[3:4]
	global_store_dwordx2 v[5:6], v[1:2], off
	global_load_dwordx2 v[7:8], v[9:10], off offset:4016
	v_add_u32_e32 v1, 0x1c00, v107
	ds_read2_b64 v[1:4], v1 offset0:118 offset1:196
	s_waitcnt vmcnt(0) lgkmcnt(0)
	v_mul_f32_e32 v9, v2, v8
	v_mul_f32_e32 v8, v1, v8
	v_fmac_f32_e32 v9, v1, v7
	v_fma_f32 v7, v7, v2, -v8
	v_cvt_f64_f32_e32 v[1:2], v9
	v_cvt_f64_f32_e32 v[7:8], v7
	v_add_co_u32_e32 v9, vcc, s3, v13
	v_mul_f64 v[1:2], v[1:2], s[0:1]
	v_mul_f64 v[7:8], v[7:8], s[0:1]
	v_addc_co_u32_e32 v10, vcc, 0, v14, vcc
	v_add_co_u32_e32 v5, vcc, s4, v5
	v_addc_co_u32_e32 v6, vcc, v6, v11, vcc
	v_cvt_f32_f64_e32 v1, v[1:2]
	v_cvt_f32_f64_e32 v2, v[7:8]
	global_store_dwordx2 v[5:6], v[1:2], off
	global_load_dwordx2 v[1:2], v[9:10], off offset:544
	s_waitcnt vmcnt(0)
	v_mul_f32_e32 v7, v4, v2
	v_mul_f32_e32 v2, v3, v2
	v_fmac_f32_e32 v7, v3, v1
	v_fma_f32 v3, v1, v4, -v2
	v_cvt_f64_f32_e32 v[1:2], v7
	v_cvt_f64_f32_e32 v[3:4], v3
	v_mov_b32_e32 v7, s5
	v_mul_f64 v[1:2], v[1:2], s[0:1]
	v_mul_f64 v[3:4], v[3:4], s[0:1]
	v_cvt_f32_f64_e32 v1, v[1:2]
	v_cvt_f32_f64_e32 v2, v[3:4]
	v_add_co_u32_e32 v4, vcc, s4, v5
	v_addc_co_u32_e32 v5, vcc, v6, v7, vcc
	global_store_dwordx2 v[4:5], v[1:2], off
	global_load_dwordx2 v[6:7], v[9:10], off offset:1168
	ds_read2_b64 v[0:3], v0 offset0:146 offset1:224
	v_add_co_u32_e32 v4, vcc, s4, v4
	s_waitcnt vmcnt(0) lgkmcnt(0)
	v_mul_f32_e32 v8, v1, v7
	v_mul_f32_e32 v7, v0, v7
	v_fmac_f32_e32 v8, v0, v6
	v_fma_f32 v6, v6, v1, -v7
	v_cvt_f64_f32_e32 v[0:1], v8
	v_cvt_f64_f32_e32 v[6:7], v6
	v_mov_b32_e32 v8, s5
	v_addc_co_u32_e32 v5, vcc, v5, v8, vcc
	v_mul_f64 v[0:1], v[0:1], s[0:1]
	v_mul_f64 v[6:7], v[6:7], s[0:1]
	v_cvt_f32_f64_e32 v0, v[0:1]
	v_cvt_f32_f64_e32 v1, v[6:7]
	global_store_dwordx2 v[4:5], v[0:1], off
	global_load_dwordx2 v[0:1], v[9:10], off offset:1792
	s_waitcnt vmcnt(0)
	v_mul_f32_e32 v6, v3, v1
	v_mul_f32_e32 v1, v2, v1
	v_fmac_f32_e32 v6, v2, v0
	v_fma_f32 v2, v0, v3, -v1
	v_cvt_f64_f32_e32 v[0:1], v6
	v_cvt_f64_f32_e32 v[2:3], v2
	v_mov_b32_e32 v6, s5
	v_mul_f64 v[0:1], v[0:1], s[0:1]
	v_mul_f64 v[2:3], v[2:3], s[0:1]
	v_cvt_f32_f64_e32 v0, v[0:1]
	v_cvt_f32_f64_e32 v1, v[2:3]
	v_add_co_u32_e32 v2, vcc, s4, v4
	v_addc_co_u32_e32 v3, vcc, v5, v6, vcc
	global_store_dwordx2 v[2:3], v[0:1], off
.LBB0_23:
	s_endpgm
	.section	.rodata,"a",@progbits
	.p2align	6, 0x0
	.amdhsa_kernel bluestein_single_fwd_len1326_dim1_sp_op_CI_CI
		.amdhsa_group_segment_fixed_size 21216
		.amdhsa_private_segment_fixed_size 64
		.amdhsa_kernarg_size 104
		.amdhsa_user_sgpr_count 6
		.amdhsa_user_sgpr_private_segment_buffer 1
		.amdhsa_user_sgpr_dispatch_ptr 0
		.amdhsa_user_sgpr_queue_ptr 0
		.amdhsa_user_sgpr_kernarg_segment_ptr 1
		.amdhsa_user_sgpr_dispatch_id 0
		.amdhsa_user_sgpr_flat_scratch_init 0
		.amdhsa_user_sgpr_private_segment_size 0
		.amdhsa_uses_dynamic_stack 0
		.amdhsa_system_sgpr_private_segment_wavefront_offset 1
		.amdhsa_system_sgpr_workgroup_id_x 1
		.amdhsa_system_sgpr_workgroup_id_y 0
		.amdhsa_system_sgpr_workgroup_id_z 0
		.amdhsa_system_sgpr_workgroup_info 0
		.amdhsa_system_vgpr_workitem_id 0
		.amdhsa_next_free_vgpr 256
		.amdhsa_next_free_sgpr 28
		.amdhsa_reserve_vcc 1
		.amdhsa_reserve_flat_scratch 0
		.amdhsa_float_round_mode_32 0
		.amdhsa_float_round_mode_16_64 0
		.amdhsa_float_denorm_mode_32 3
		.amdhsa_float_denorm_mode_16_64 3
		.amdhsa_dx10_clamp 1
		.amdhsa_ieee_mode 1
		.amdhsa_fp16_overflow 0
		.amdhsa_exception_fp_ieee_invalid_op 0
		.amdhsa_exception_fp_denorm_src 0
		.amdhsa_exception_fp_ieee_div_zero 0
		.amdhsa_exception_fp_ieee_overflow 0
		.amdhsa_exception_fp_ieee_underflow 0
		.amdhsa_exception_fp_ieee_inexact 0
		.amdhsa_exception_int_div_zero 0
	.end_amdhsa_kernel
	.text
.Lfunc_end0:
	.size	bluestein_single_fwd_len1326_dim1_sp_op_CI_CI, .Lfunc_end0-bluestein_single_fwd_len1326_dim1_sp_op_CI_CI
                                        ; -- End function
	.section	.AMDGPU.csdata,"",@progbits
; Kernel info:
; codeLenInByte = 24240
; NumSgprs: 32
; NumVgprs: 256
; ScratchSize: 64
; MemoryBound: 0
; FloatMode: 240
; IeeeMode: 1
; LDSByteSize: 21216 bytes/workgroup (compile time only)
; SGPRBlocks: 3
; VGPRBlocks: 63
; NumSGPRsForWavesPerEU: 32
; NumVGPRsForWavesPerEU: 256
; Occupancy: 1
; WaveLimiterHint : 1
; COMPUTE_PGM_RSRC2:SCRATCH_EN: 1
; COMPUTE_PGM_RSRC2:USER_SGPR: 6
; COMPUTE_PGM_RSRC2:TRAP_HANDLER: 0
; COMPUTE_PGM_RSRC2:TGID_X_EN: 1
; COMPUTE_PGM_RSRC2:TGID_Y_EN: 0
; COMPUTE_PGM_RSRC2:TGID_Z_EN: 0
; COMPUTE_PGM_RSRC2:TIDIG_COMP_CNT: 0
	.type	__hip_cuid_2c51af1560c3836b,@object ; @__hip_cuid_2c51af1560c3836b
	.section	.bss,"aw",@nobits
	.globl	__hip_cuid_2c51af1560c3836b
__hip_cuid_2c51af1560c3836b:
	.byte	0                               ; 0x0
	.size	__hip_cuid_2c51af1560c3836b, 1

	.ident	"AMD clang version 19.0.0git (https://github.com/RadeonOpenCompute/llvm-project roc-6.4.0 25133 c7fe45cf4b819c5991fe208aaa96edf142730f1d)"
	.section	".note.GNU-stack","",@progbits
	.addrsig
	.addrsig_sym __hip_cuid_2c51af1560c3836b
	.amdgpu_metadata
---
amdhsa.kernels:
  - .args:
      - .actual_access:  read_only
        .address_space:  global
        .offset:         0
        .size:           8
        .value_kind:     global_buffer
      - .actual_access:  read_only
        .address_space:  global
        .offset:         8
        .size:           8
        .value_kind:     global_buffer
      - .actual_access:  read_only
        .address_space:  global
        .offset:         16
        .size:           8
        .value_kind:     global_buffer
      - .actual_access:  read_only
        .address_space:  global
        .offset:         24
        .size:           8
        .value_kind:     global_buffer
      - .actual_access:  read_only
        .address_space:  global
        .offset:         32
        .size:           8
        .value_kind:     global_buffer
      - .offset:         40
        .size:           8
        .value_kind:     by_value
      - .address_space:  global
        .offset:         48
        .size:           8
        .value_kind:     global_buffer
      - .address_space:  global
        .offset:         56
        .size:           8
        .value_kind:     global_buffer
      - .address_space:  global
        .offset:         64
        .size:           8
        .value_kind:     global_buffer
      - .address_space:  global
        .offset:         72
        .size:           8
        .value_kind:     global_buffer
      - .offset:         80
        .size:           4
        .value_kind:     by_value
      - .address_space:  global
        .offset:         88
        .size:           8
        .value_kind:     global_buffer
      - .address_space:  global
        .offset:         96
        .size:           8
        .value_kind:     global_buffer
    .group_segment_fixed_size: 21216
    .kernarg_segment_align: 8
    .kernarg_segment_size: 104
    .language:       OpenCL C
    .language_version:
      - 2
      - 0
    .max_flat_workgroup_size: 204
    .name:           bluestein_single_fwd_len1326_dim1_sp_op_CI_CI
    .private_segment_fixed_size: 64
    .sgpr_count:     32
    .sgpr_spill_count: 0
    .symbol:         bluestein_single_fwd_len1326_dim1_sp_op_CI_CI.kd
    .uniform_work_group_size: 1
    .uses_dynamic_stack: false
    .vgpr_count:     256
    .vgpr_spill_count: 15
    .wavefront_size: 64
amdhsa.target:   amdgcn-amd-amdhsa--gfx906
amdhsa.version:
  - 1
  - 2
...

	.end_amdgpu_metadata
